;; amdgpu-corpus repo=zjin-lcf/HeCBench kind=compiled arch=gfx1201 opt=O3
	.amdgcn_target "amdgcn-amd-amdhsa--gfx1201"
	.amdhsa_code_object_version 6
	.text
	.protected	_Z3mdhPKfS0_S0_S0_S0_S0_S0_S0_Pfffi ; -- Begin function _Z3mdhPKfS0_S0_S0_S0_S0_S0_S0_Pfffi
	.globl	_Z3mdhPKfS0_S0_S0_S0_S0_S0_S0_Pfffi
	.p2align	8
	.type	_Z3mdhPKfS0_S0_S0_S0_S0_S0_S0_Pfffi,@function
_Z3mdhPKfS0_S0_S0_S0_S0_S0_S0_Pfffi:    ; @_Z3mdhPKfS0_S0_S0_S0_S0_S0_S0_Pfffi
; %bb.0:
	s_clause 0x2
	s_load_b32 s2, s[0:1], 0x64
	s_load_b96 s[24:26], s[0:1], 0x48
	s_load_b64 s[28:29], s[0:1], 0x40
	s_mov_b32 s27, 0
	s_wait_kmcnt 0x0
	s_and_b32 s7, s2, 0xffff
	s_cmp_lt_i32 s26, 1
	v_mad_co_u64_u32 v[1:2], null, ttmp9, s7, v[0:1]
	s_delay_alu instid0(VALU_DEP_1) | instskip(NEXT) | instid1(VALU_DEP_1)
	v_ashrrev_i32_e32 v2, 31, v1
	v_lshlrev_b64_e32 v[17:18], 4, v[1:2]
	s_cbranch_scc1 .LBB0_8
; %bb.1:
	s_clause 0x1
	s_load_b256 s[8:15], s[0:1], 0x0
	s_load_b256 s[16:23], s[0:1], 0x20
	v_mul_u32_u24_e32 v19, 20, v0
	s_delay_alu instid0(VALU_DEP_1) | instskip(SKIP_2) | instid1(VALU_DEP_1)
	v_add_nc_u32_e32 v21, 0, v19
	s_wait_kmcnt 0x0
	v_add_co_u32 v1, vcc_lo, s14, v17
	v_add_co_ci_u32_e64 v2, null, s15, v18, vcc_lo
	v_add_co_u32 v3, vcc_lo, s16, v17
	s_wait_alu 0xfffd
	v_add_co_ci_u32_e64 v4, null, s17, v18, vcc_lo
	v_add_co_u32 v13, vcc_lo, s18, v17
	s_wait_alu 0xfffd
	v_add_co_ci_u32_e64 v14, null, s19, v18, vcc_lo
	global_load_b128 v[5:8], v[1:2], off
	global_load_b128 v[9:12], v[3:4], off
	;; [unrolled: 1-line block ×3, first 2 shown]
	v_mov_b32_e32 v1, 0
	s_xor_b32 s18, s25, 0x80000000
	s_mov_b32 s14, s24
	s_mov_b32 s15, s24
	;; [unrolled: 1-line block ×3, first 2 shown]
	v_dual_mov_b32 v2, v1 :: v_dual_mov_b32 v3, v1
	v_mov_b32_e32 v4, v1
	s_mov_b32 s17, s24
	s_wait_alu 0xfffe
	s_mov_b32 s19, s18
	s_mov_b32 s24, s18
	;; [unrolled: 1-line block ×3, first 2 shown]
	s_branch .LBB0_3
.LBB0_2:                                ;   in Loop: Header=BB0_3 Depth=1
	s_add_co_i32 s27, s7, s27
	s_wait_loadcnt 0x0
	s_wait_alu 0xfffe
	s_cmp_ge_i32 s27, s26
	s_barrier_signal -1
	s_barrier_wait -1
	global_inv scope:SCOPE_SE
	s_cbranch_scc1 .LBB0_9
.LBB0_3:                                ; =>This Loop Header: Depth=1
                                        ;     Child Loop BB0_7 Depth 2
	v_add_nc_u32_e32 v19, s27, v0
	s_mov_b32 s0, exec_lo
	s_delay_alu instid0(VALU_DEP_1)
	v_cmpx_gt_i32_e64 s26, v19
	s_cbranch_execz .LBB0_5
; %bb.4:                                ;   in Loop: Header=BB0_3 Depth=1
	v_ashrrev_i32_e32 v20, 31, v19
	s_delay_alu instid0(VALU_DEP_1) | instskip(NEXT) | instid1(VALU_DEP_1)
	v_lshlrev_b64_e32 v[19:20], 2, v[19:20]
	v_add_co_u32 v22, vcc_lo, s8, v19
	s_wait_alu 0xfffd
	s_delay_alu instid0(VALU_DEP_2)
	v_add_co_ci_u32_e64 v23, null, s9, v20, vcc_lo
	v_add_co_u32 v24, vcc_lo, s10, v19
	s_wait_alu 0xfffd
	v_add_co_ci_u32_e64 v25, null, s11, v20, vcc_lo
	v_add_co_u32 v26, vcc_lo, s12, v19
	s_wait_alu 0xfffd
	;; [unrolled: 3-line block ×4, first 2 shown]
	v_add_co_ci_u32_e64 v20, null, s23, v20, vcc_lo
	global_load_b32 v22, v[22:23], off
	global_load_b32 v23, v[24:25], off
	;; [unrolled: 1-line block ×5, first 2 shown]
	s_wait_loadcnt 0x3
	ds_store_2addr_b32 v21, v22, v23 offset1:1
	s_wait_loadcnt 0x1
	ds_store_2addr_b32 v21, v24, v25 offset0:2 offset1:3
	s_wait_loadcnt 0x0
	ds_store_b32 v21, v19 offset:16
.LBB0_5:                                ;   in Loop: Header=BB0_3 Depth=1
	s_wait_alu 0xfffe
	s_or_b32 exec_lo, exec_lo, s0
	s_add_co_i32 s0, s7, s27
	s_sub_co_i32 s1, s26, s27
	s_wait_alu 0xfffe
	s_cmp_gt_i32 s0, s26
	s_wait_loadcnt_dscnt 0x0
	s_cselect_b32 s7, s1, s7
	s_barrier_signal -1
	s_wait_alu 0xfffe
	s_cmp_lt_i32 s7, 1
	s_barrier_wait -1
	global_inv scope:SCOPE_SE
	s_cbranch_scc1 .LBB0_2
; %bb.6:                                ;   in Loop: Header=BB0_3 Depth=1
	s_mov_b32 s31, 0
	s_mov_b32 s33, 0
.LBB0_7:                                ;   Parent Loop BB0_3 Depth=1
                                        ; =>  This Inner Loop Header: Depth=2
	s_wait_alu 0xfffe
	v_mov_b32_e32 v24, s33
	s_add_co_i32 s31, s31, 1
	s_add_co_i32 s33, s33, 20
	s_wait_alu 0xfffe
	s_cmp_ge_i32 s31, s7
	ds_load_2addr_b32 v[22:23], v24 offset1:1
	ds_load_2addr_b32 v[19:20], v24 offset0:2 offset1:3
	ds_load_b32 v24, v24 offset:16
	s_wait_dscnt 0x2
	v_sub_f32_e32 v25, v8, v22
	v_dual_sub_f32 v26, v7, v22 :: v_dual_sub_f32 v29, v10, v23
	v_dual_sub_f32 v27, v6, v22 :: v_dual_sub_f32 v28, v9, v23
	v_sub_f32_e32 v22, v5, v22
	s_delay_alu instid0(VALU_DEP_3) | instskip(SKIP_3) | instid1(VALU_DEP_3)
	v_dual_sub_f32 v30, v11, v23 :: v_dual_mul_f32 v29, v29, v29
	v_sub_f32_e32 v23, v12, v23
	s_wait_dscnt 0x1
	v_dual_sub_f32 v31, v13, v19 :: v_dual_mul_f32 v28, v28, v28
	v_dual_sub_f32 v33, v15, v19 :: v_dual_mul_f32 v30, v30, v30
	s_delay_alu instid0(VALU_DEP_3)
	v_mul_f32_e32 v23, v23, v23
	s_wait_dscnt 0x0
	v_fma_f32 v34, s25, v24, 1.0
	v_fmac_f32_e32 v28, v22, v22
	v_fmac_f32_e32 v30, v26, v26
	v_dual_sub_f32 v32, v14, v19 :: v_dual_fmac_f32 v23, v25, v25
	v_sub_f32_e32 v19, v16, v19
	s_delay_alu instid0(VALU_DEP_3) | instskip(NEXT) | instid1(VALU_DEP_1)
	v_dual_fmac_f32 v29, v27, v27 :: v_dual_fmac_f32 v30, v33, v33
	v_dual_fmac_f32 v28, v31, v31 :: v_dual_fmac_f32 v29, v32, v32
	s_delay_alu instid0(VALU_DEP_3) | instskip(NEXT) | instid1(VALU_DEP_2)
	v_fmac_f32_e32 v23, v19, v19
	v_cmp_gt_f32_e64 s2, 0xf800000, v28
	s_delay_alu instid0(VALU_DEP_4) | instskip(NEXT) | instid1(VALU_DEP_4)
	v_cmp_gt_f32_e64 s0, 0xf800000, v30
	v_dual_mul_f32 v22, 0x4f800000, v29 :: v_dual_mul_f32 v19, 0x4f800000, v28
	s_delay_alu instid0(VALU_DEP_4)
	v_mul_f32_e32 v26, 0x4f800000, v23
	v_cmp_gt_f32_e32 vcc_lo, 0xf800000, v29
	v_cmp_gt_f32_e64 s1, 0xf800000, v23
	s_wait_alu 0xf1ff
	v_cndmask_b32_e64 v19, v28, v19, s2
	s_wait_alu 0xfffd
	v_cndmask_b32_e32 v22, v29, v22, vcc_lo
	v_cndmask_b32_e64 v23, v23, v26, s1
	s_delay_alu instid0(VALU_DEP_3) | instskip(NEXT) | instid1(VALU_DEP_2)
	v_sqrt_f32_e32 v26, v19
	v_sqrt_f32_e32 v27, v22
	s_delay_alu instid0(VALU_DEP_1) | instskip(NEXT) | instid1(TRANS32_DEP_2)
	v_sqrt_f32_e32 v29, v23
	v_dual_mul_f32 v25, 0x4f800000, v30 :: v_dual_add_nc_u32 v32, -1, v27
	v_add_nc_u32_e32 v33, 1, v27
	s_delay_alu instid0(TRANS32_DEP_1) | instskip(SKIP_1) | instid1(VALU_DEP_4)
	v_add_nc_u32_e32 v37, -1, v29
	v_add_nc_u32_e32 v38, 1, v29
	v_cndmask_b32_e64 v25, v30, v25, s0
	s_delay_alu instid0(TRANS32_DEP_3)
	v_add_nc_u32_e32 v30, -1, v26
	v_fma_f32 v41, -v32, v27, v22
	v_fma_f32 v45, -v37, v29, v23
	;; [unrolled: 1-line block ×3, first 2 shown]
	v_sqrt_f32_e32 v28, v25
	v_fma_f32 v39, -v30, v26, v19
	v_fma_f32 v42, -v33, v27, v22
	v_cmp_ge_f32_e64 s5, 0, v45
	s_delay_alu instid0(VALU_DEP_3) | instskip(SKIP_1) | instid1(VALU_DEP_2)
	v_cmp_ge_f32_e64 s3, 0, v39
	s_wait_alu 0xf1ff
	v_cndmask_b32_e64 v29, v29, v37, s5
	v_cmp_lt_f32_e64 s5, 0, v46
	s_wait_alu 0xf1ff
	s_delay_alu instid0(VALU_DEP_1) | instskip(SKIP_1) | instid1(VALU_DEP_1)
	v_cndmask_b32_e64 v29, v29, v38, s5
	v_add_nc_u32_e32 v31, 1, v26
	v_fma_f32 v40, -v31, v26, v19
	v_cndmask_b32_e64 v26, v26, v30, s3
	v_cmp_ge_f32_e64 s3, 0, v41
	s_delay_alu instid0(VALU_DEP_3) | instskip(SKIP_1) | instid1(VALU_DEP_2)
	v_cmp_lt_f32_e64 s6, 0, v40
	s_wait_alu 0xf1ff
	v_cndmask_b32_e64 v27, v27, v32, s3
	v_cmp_lt_f32_e64 s3, 0, v42
	v_mul_f32_e32 v32, 0x37800000, v29
	v_cndmask_b32_e64 v26, v26, v31, s6
	v_add_nc_u32_e32 v35, -1, v28
	s_wait_alu 0xf1ff
	v_cndmask_b32_e64 v27, v27, v33, s3
	v_cndmask_b32_e64 v29, v29, v32, s1
	v_mul_f32_e32 v30, 0x37800000, v26
	v_fma_f32 v43, -v35, v28, v25
	v_cmp_class_f32_e64 s1, v23, 0x260
	v_dual_mul_f32 v31, 0x37800000, v27 :: v_dual_add_nc_u32 v36, 1, v28
	s_delay_alu instid0(VALU_DEP_4) | instskip(NEXT) | instid1(VALU_DEP_4)
	v_cndmask_b32_e64 v26, v26, v30, s2
	v_cmp_ge_f32_e64 s4, 0, v43
	v_cmp_class_f32_e64 s2, v19, 0x260
	s_delay_alu instid0(VALU_DEP_4)
	v_cndmask_b32_e32 v27, v27, v31, vcc_lo
	v_fma_f32 v44, -v36, v28, v25
	v_cmp_class_f32_e64 vcc_lo, v22, 0x260
	s_wait_alu 0xf1ff
	v_cndmask_b32_e64 v28, v28, v35, s4
	v_cndmask_b32_e64 v19, v26, v19, s2
	;; [unrolled: 1-line block ×3, first 2 shown]
	v_cmp_lt_f32_e64 s4, 0, v44
	s_wait_alu 0xfffd
	v_cndmask_b32_e32 v22, v27, v22, vcc_lo
	v_div_scale_f32 v32, null, v19, v19, v20
	s_wait_alu 0xf1ff
	v_cndmask_b32_e64 v28, v28, v36, s4
	v_div_scale_f32 v26, null, v23, v23, v20
	s_delay_alu instid0(VALU_DEP_3) | instskip(SKIP_1) | instid1(VALU_DEP_3)
	v_rcp_f32_e32 v41, v32
	v_div_scale_f32 v30, null, v22, v22, v20
	v_mul_f32_e32 v33, 0x37800000, v28
	s_delay_alu instid0(VALU_DEP_3) | instskip(SKIP_1) | instid1(VALU_DEP_3)
	v_rcp_f32_e32 v38, v26
	v_div_scale_f32 v27, vcc_lo, v20, v23, v20
	v_rcp_f32_e32 v40, v30
	s_delay_alu instid0(VALU_DEP_2) | instskip(SKIP_1) | instid1(TRANS32_DEP_3)
	v_cndmask_b32_e64 v28, v28, v33, s0
	v_cmp_class_f32_e64 s0, v25, 0x260
	v_fma_f32 v49, -v32, v41, 1.0
	v_div_scale_f32 v31, s1, v20, v22, v20
	v_div_scale_f32 v33, s2, v20, v19, v20
	s_wait_alu 0xf1ff
	v_cndmask_b32_e64 v25, v28, v25, s0
	v_fmac_f32_e32 v41, v49, v41
	v_fma_f32 v46, -v26, v38, 1.0
	v_fma_f32 v48, -v30, v40, 1.0
	s_delay_alu instid0(VALU_DEP_4) | instskip(NEXT) | instid1(VALU_DEP_3)
	v_div_scale_f32 v28, null, v25, v25, v20
	v_dual_sub_f32 v37, v25, v24 :: v_dual_fmac_f32 v38, v46, v38
	v_div_scale_f32 v29, s0, v20, v25, v20
	s_delay_alu instid0(VALU_DEP_3) | instskip(NEXT) | instid1(VALU_DEP_2)
	v_rcp_f32_e32 v39, v28
	v_mul_f32_e32 v37, s24, v37
	s_delay_alu instid0(VALU_DEP_1) | instskip(NEXT) | instid1(VALU_DEP_1)
	v_dual_sub_f32 v35, v19, v24 :: v_dual_mul_f32 v44, 0x3fb8aa3b, v37
	v_dual_sub_f32 v36, v22, v24 :: v_dual_mul_f32 v35, s18, v35
	v_sub_f32_e32 v24, v23, v24
	s_delay_alu instid0(TRANS32_DEP_1) | instskip(NEXT) | instid1(VALU_DEP_4)
	v_fma_f32 v47, -v28, v39, 1.0
	v_rndne_f32_e32 v55, v44
	s_delay_alu instid0(VALU_DEP_4) | instskip(SKIP_1) | instid1(VALU_DEP_4)
	v_mul_f32_e32 v36, s19, v36
	v_mul_f32_e32 v42, 0x3fb8aa3b, v35
	v_dual_mul_f32 v24, s30, v24 :: v_dual_fmac_f32 v39, v47, v39
	v_fma_f32 v54, 0x3fb8aa3b, v37, -v44
	s_delay_alu instid0(VALU_DEP_4) | instskip(NEXT) | instid1(VALU_DEP_4)
	v_mul_f32_e32 v43, 0x3fb8aa3b, v36
	v_rndne_f32_e32 v51, v42
	s_delay_alu instid0(VALU_DEP_4)
	v_mul_f32_e32 v45, 0x3fb8aa3b, v24
	v_fma_f32 v50, 0x3fb8aa3b, v35, -v42
	v_fmac_f32_e32 v54, 0x32a5705f, v37
	v_rndne_f32_e32 v53, v43
	v_sub_f32_e32 v42, v42, v51
	v_fma_f32 v56, 0x3fb8aa3b, v24, -v45
	v_rndne_f32_e32 v57, v45
	v_fma_f32 v52, 0x3fb8aa3b, v36, -v43
	v_dual_fmac_f32 v40, v48, v40 :: v_dual_sub_f32 v43, v43, v53
	s_delay_alu instid0(VALU_DEP_3)
	v_dual_fmac_f32 v50, 0x32a5705f, v35 :: v_dual_sub_f32 v45, v45, v57
	v_sub_f32_e32 v44, v44, v55
	v_fmac_f32_e32 v56, 0x32a5705f, v24
	v_cvt_i32_f32_e32 v46, v51
	v_dual_fmac_f32 v52, 0x32a5705f, v36 :: v_dual_mul_f32 v51, v27, v38
	v_cvt_i32_f32_e32 v47, v53
	v_cvt_i32_f32_e32 v48, v55
	;; [unrolled: 1-line block ×3, first 2 shown]
	v_mul_f32_e32 v53, v29, v39
	v_mul_f32_e32 v55, v31, v40
	v_dual_mul_f32 v57, v33, v41 :: v_dual_add_f32 v44, v44, v54
	v_dual_add_f32 v45, v45, v56 :: v_dual_add_f32 v42, v42, v50
	v_add_f32_e32 v43, v43, v52
	v_fma_f32 v50, -v26, v51, v27
	v_fma_f32 v52, -v28, v53, v29
	v_fma_f32 v56, -v32, v57, v33
	v_exp_f32_e32 v45, v45
	v_fma_f32 v54, -v30, v55, v31
	v_fmac_f32_e32 v51, v50, v38
	v_fmac_f32_e32 v53, v52, v39
	v_fmac_f32_e32 v57, v56, v41
	v_exp_f32_e32 v43, v43
	v_fmac_f32_e32 v55, v54, v40
	v_fma_f32 v26, -v26, v51, v27
	v_fma_f32 v27, -v28, v53, v29
	;; [unrolled: 1-line block ×3, first 2 shown]
	v_ldexp_f32 v33, v45, v49
	v_cmp_ngt_f32_e64 s6, 0xc2ce8ed0, v24
	v_fma_f32 v28, -v30, v55, v31
	s_wait_alu 0xfffd
	v_div_fmas_f32 v26, v26, v38, v51
	s_mov_b32 vcc_lo, s0
	v_exp_f32_e32 v42, v42
	v_cndmask_b32_e64 v33, 0, v33, s6
	v_cmp_nlt_f32_e64 s6, 0x42b17218, v24
	s_wait_alu 0xfffe
	v_div_fmas_f32 v24, v27, v39, v53
	s_mov_b32 vcc_lo, s1
	v_exp_f32_e32 v44, v44
	v_ldexp_f32 v31, v43, v47
	v_cmp_ngt_f32_e64 s4, 0xc2ce8ed0, v36
	s_wait_alu 0xfffe
	v_div_fmas_f32 v27, v28, v40, v55
	v_cmp_ngt_f32_e64 s3, 0xc2ce8ed0, v35
	v_ldexp_f32 v30, v42, v46
	v_cmp_ngt_f32_e64 s5, 0xc2ce8ed0, v37
	s_wait_alu 0xf1ff
	v_cndmask_b32_e64 v31, 0, v31, s4
	v_cmp_nlt_f32_e64 s4, 0x42b17218, v36
	v_div_fixup_f32 v22, v27, v22, v20
	v_ldexp_f32 v32, v44, v48
	v_div_fixup_f32 v23, v26, v23, v20
	s_mov_b32 vcc_lo, s2
	v_cndmask_b32_e64 v28, 0x7f800000, v31, s4
	v_mul_f32_e32 v22, s15, v22
	v_cndmask_b32_e64 v30, 0, v30, s3
	v_cmp_nlt_f32_e64 s3, 0x42b17218, v35
	v_cndmask_b32_e64 v32, 0, v32, s5
	v_cmp_nlt_f32_e64 s5, 0x42b17218, v37
	v_cndmask_b32_e64 v31, 0x7f800000, v33, s6
	v_div_fixup_f32 v24, v24, v25, v20
	v_dual_mul_f32 v23, s17, v23 :: v_dual_mul_f32 v22, v22, v28
	s_wait_alu 0xfffe
	v_div_fmas_f32 v29, v29, v41, v57
	s_wait_alu 0xf1ff
	v_cndmask_b32_e64 v26, 0x7f800000, v30, s3
	v_cndmask_b32_e64 v30, 0x7f800000, v32, s5
	v_mul_f32_e32 v23, v23, v31
	v_div_scale_f32 v28, null, v34, v34, v22
	v_div_fixup_f32 v19, v29, v19, v20
	v_mul_f32_e32 v20, s16, v24
	s_delay_alu instid0(VALU_DEP_4) | instskip(NEXT) | instid1(VALU_DEP_4)
	v_div_scale_f32 v24, null, v34, v34, v23
	v_rcp_f32_e32 v35, v28
	s_delay_alu instid0(VALU_DEP_2) | instskip(NEXT) | instid1(VALU_DEP_2)
	v_dual_mul_f32 v19, s14, v19 :: v_dual_mul_f32 v20, v20, v30
	v_rcp_f32_e32 v30, v24
	v_div_scale_f32 v25, s0, v23, v34, v23
	s_delay_alu instid0(VALU_DEP_2) | instskip(NEXT) | instid1(VALU_DEP_3)
	v_mul_f32_e32 v19, v19, v26
	v_div_scale_f32 v26, null, v34, v34, v20
	v_div_scale_f32 v27, s1, v20, v34, v20
	s_delay_alu instid0(VALU_DEP_3) | instskip(NEXT) | instid1(VALU_DEP_3)
	v_div_scale_f32 v31, null, v34, v34, v19
	v_rcp_f32_e32 v33, v26
	s_delay_alu instid0(TRANS32_DEP_2) | instskip(SKIP_1) | instid1(VALU_DEP_3)
	v_fma_f32 v37, -v24, v30, 1.0
	v_fma_f32 v39, -v28, v35, 1.0
	v_rcp_f32_e32 v36, v31
	v_div_scale_f32 v32, vcc_lo, v19, v34, v19
	s_delay_alu instid0(VALU_DEP_3) | instskip(SKIP_2) | instid1(TRANS32_DEP_2)
	v_fmac_f32_e32 v30, v37, v30
	v_div_scale_f32 v29, s2, v22, v34, v22
	v_fmac_f32_e32 v35, v39, v35
	v_fma_f32 v38, -v26, v33, 1.0
	s_delay_alu instid0(TRANS32_DEP_1) | instskip(NEXT) | instid1(VALU_DEP_3)
	v_fma_f32 v37, -v31, v36, 1.0
	v_mul_f32_e32 v39, v29, v35
	s_delay_alu instid0(VALU_DEP_3) | instskip(NEXT) | instid1(VALU_DEP_3)
	v_dual_fmac_f32 v33, v38, v33 :: v_dual_mul_f32 v38, v25, v30
	v_fmac_f32_e32 v36, v37, v36
	s_delay_alu instid0(VALU_DEP_3) | instskip(NEXT) | instid1(VALU_DEP_3)
	v_fma_f32 v43, -v28, v39, v29
	v_fma_f32 v40, -v24, v38, v25
	s_delay_alu instid0(VALU_DEP_3) | instskip(NEXT) | instid1(VALU_DEP_2)
	v_mul_f32_e32 v41, v32, v36
	v_dual_fmac_f32 v39, v43, v35 :: v_dual_fmac_f32 v38, v40, v30
	v_mul_f32_e32 v37, v27, v33
	s_delay_alu instid0(VALU_DEP_3) | instskip(NEXT) | instid1(VALU_DEP_3)
	v_fma_f32 v40, -v31, v41, v32
	v_fma_f32 v24, -v24, v38, v25
	s_delay_alu instid0(VALU_DEP_3) | instskip(NEXT) | instid1(VALU_DEP_3)
	v_fma_f32 v42, -v26, v37, v27
	v_fmac_f32_e32 v41, v40, v36
	s_delay_alu instid0(VALU_DEP_2) | instskip(NEXT) | instid1(VALU_DEP_1)
	v_fmac_f32_e32 v37, v42, v33
	v_fma_f32 v25, -v26, v37, v27
	s_delay_alu instid0(VALU_DEP_3) | instskip(SKIP_2) | instid1(VALU_DEP_2)
	v_fma_f32 v27, -v31, v41, v32
	v_fma_f32 v26, -v28, v39, v29
	s_wait_alu 0xfffd
	v_div_fmas_f32 v27, v27, v36, v41
	s_mov_b32 vcc_lo, s2
	s_wait_alu 0xfffe
	v_div_fmas_f32 v26, v26, v35, v39
	s_mov_b32 vcc_lo, s1
	s_wait_alu 0xfffe
	v_div_fmas_f32 v25, v25, v33, v37
	s_mov_b32 vcc_lo, s0
	v_div_fixup_f32 v22, v26, v34, v22
	s_wait_alu 0xfffe
	v_div_fmas_f32 v24, v24, v30, v38
	v_div_fixup_f32 v20, v25, v34, v20
	s_delay_alu instid0(VALU_DEP_3) | instskip(NEXT) | instid1(VALU_DEP_3)
	v_add_f32_e32 v2, v2, v22
	v_div_fixup_f32 v23, v24, v34, v23
	s_delay_alu instid0(VALU_DEP_1) | instskip(SKIP_1) | instid1(VALU_DEP_1)
	v_dual_add_f32 v3, v3, v20 :: v_dual_add_f32 v4, v4, v23
	v_div_fixup_f32 v19, v27, v34, v19
	v_add_f32_e32 v1, v1, v19
	s_cbranch_scc0 .LBB0_7
	s_branch .LBB0_2
.LBB0_8:
	v_mov_b32_e32 v1, 0
	s_delay_alu instid0(VALU_DEP_1)
	v_dual_mov_b32 v2, v1 :: v_dual_mov_b32 v3, v1
	v_mov_b32_e32 v4, v1
.LBB0_9:
	s_delay_alu instid0(VALU_DEP_4)
	v_add_co_u32 v5, vcc_lo, s28, v17
	s_wait_alu 0xfffd
	v_add_co_ci_u32_e64 v6, null, s29, v18, vcc_lo
	global_store_b128 v[5:6], v[1:4], off
	s_endpgm
	.section	.rodata,"a",@progbits
	.p2align	6, 0x0
	.amdhsa_kernel _Z3mdhPKfS0_S0_S0_S0_S0_S0_S0_Pfffi
		.amdhsa_group_segment_fixed_size 0
		.amdhsa_private_segment_fixed_size 0
		.amdhsa_kernarg_size 344
		.amdhsa_user_sgpr_count 2
		.amdhsa_user_sgpr_dispatch_ptr 0
		.amdhsa_user_sgpr_queue_ptr 0
		.amdhsa_user_sgpr_kernarg_segment_ptr 1
		.amdhsa_user_sgpr_dispatch_id 0
		.amdhsa_user_sgpr_private_segment_size 0
		.amdhsa_wavefront_size32 1
		.amdhsa_uses_dynamic_stack 0
		.amdhsa_enable_private_segment 0
		.amdhsa_system_sgpr_workgroup_id_x 1
		.amdhsa_system_sgpr_workgroup_id_y 0
		.amdhsa_system_sgpr_workgroup_id_z 0
		.amdhsa_system_sgpr_workgroup_info 0
		.amdhsa_system_vgpr_workitem_id 0
		.amdhsa_next_free_vgpr 58
		.amdhsa_next_free_sgpr 34
		.amdhsa_reserve_vcc 1
		.amdhsa_float_round_mode_32 0
		.amdhsa_float_round_mode_16_64 0
		.amdhsa_float_denorm_mode_32 3
		.amdhsa_float_denorm_mode_16_64 3
		.amdhsa_fp16_overflow 0
		.amdhsa_workgroup_processor_mode 1
		.amdhsa_memory_ordered 1
		.amdhsa_forward_progress 1
		.amdhsa_inst_pref_size 21
		.amdhsa_round_robin_scheduling 0
		.amdhsa_exception_fp_ieee_invalid_op 0
		.amdhsa_exception_fp_denorm_src 0
		.amdhsa_exception_fp_ieee_div_zero 0
		.amdhsa_exception_fp_ieee_overflow 0
		.amdhsa_exception_fp_ieee_underflow 0
		.amdhsa_exception_fp_ieee_inexact 0
		.amdhsa_exception_int_div_zero 0
	.end_amdhsa_kernel
	.text
.Lfunc_end0:
	.size	_Z3mdhPKfS0_S0_S0_S0_S0_S0_S0_Pfffi, .Lfunc_end0-_Z3mdhPKfS0_S0_S0_S0_S0_S0_S0_Pfffi
                                        ; -- End function
	.set _Z3mdhPKfS0_S0_S0_S0_S0_S0_S0_Pfffi.num_vgpr, 58
	.set _Z3mdhPKfS0_S0_S0_S0_S0_S0_S0_Pfffi.num_agpr, 0
	.set _Z3mdhPKfS0_S0_S0_S0_S0_S0_S0_Pfffi.numbered_sgpr, 34
	.set _Z3mdhPKfS0_S0_S0_S0_S0_S0_S0_Pfffi.num_named_barrier, 0
	.set _Z3mdhPKfS0_S0_S0_S0_S0_S0_S0_Pfffi.private_seg_size, 0
	.set _Z3mdhPKfS0_S0_S0_S0_S0_S0_S0_Pfffi.uses_vcc, 1
	.set _Z3mdhPKfS0_S0_S0_S0_S0_S0_S0_Pfffi.uses_flat_scratch, 0
	.set _Z3mdhPKfS0_S0_S0_S0_S0_S0_S0_Pfffi.has_dyn_sized_stack, 0
	.set _Z3mdhPKfS0_S0_S0_S0_S0_S0_S0_Pfffi.has_recursion, 0
	.set _Z3mdhPKfS0_S0_S0_S0_S0_S0_S0_Pfffi.has_indirect_call, 0
	.section	.AMDGPU.csdata,"",@progbits
; Kernel info:
; codeLenInByte = 2644
; TotalNumSgprs: 36
; NumVgprs: 58
; ScratchSize: 0
; MemoryBound: 0
; FloatMode: 240
; IeeeMode: 1
; LDSByteSize: 0 bytes/workgroup (compile time only)
; SGPRBlocks: 0
; VGPRBlocks: 7
; NumSGPRsForWavesPerEU: 36
; NumVGPRsForWavesPerEU: 58
; Occupancy: 16
; WaveLimiterHint : 0
; COMPUTE_PGM_RSRC2:SCRATCH_EN: 0
; COMPUTE_PGM_RSRC2:USER_SGPR: 2
; COMPUTE_PGM_RSRC2:TRAP_HANDLER: 0
; COMPUTE_PGM_RSRC2:TGID_X_EN: 1
; COMPUTE_PGM_RSRC2:TGID_Y_EN: 0
; COMPUTE_PGM_RSRC2:TGID_Z_EN: 0
; COMPUTE_PGM_RSRC2:TIDIG_COMP_CNT: 0
	.text
	.protected	_Z4mdh2PKfS0_S0_S0_S0_S0_S0_S0_Pfffi ; -- Begin function _Z4mdh2PKfS0_S0_S0_S0_S0_S0_S0_Pfffi
	.globl	_Z4mdh2PKfS0_S0_S0_S0_S0_S0_S0_Pfffi
	.p2align	8
	.type	_Z4mdh2PKfS0_S0_S0_S0_S0_S0_S0_Pfffi,@function
_Z4mdh2PKfS0_S0_S0_S0_S0_S0_S0_Pfffi:   ; @_Z4mdh2PKfS0_S0_S0_S0_S0_S0_S0_Pfffi
; %bb.0:
	s_clause 0x2
	s_load_b32 s2, s[0:1], 0x64
	s_load_b96 s[24:26], s[0:1], 0x48
	s_load_b64 s[28:29], s[0:1], 0x40
	s_wait_kmcnt 0x0
	s_and_b32 s7, s2, 0xffff
	s_cmp_lt_i32 s26, 1
	v_mad_co_u64_u32 v[1:2], null, ttmp9, s7, v[0:1]
	s_delay_alu instid0(VALU_DEP_1) | instskip(NEXT) | instid1(VALU_DEP_1)
	v_ashrrev_i32_e32 v2, 31, v1
	v_lshlrev_b64_e32 v[17:18], 4, v[1:2]
	s_cbranch_scc1 .LBB1_8
; %bb.1:
	s_clause 0x1
	s_load_b256 s[8:15], s[0:1], 0x0
	s_load_b256 s[16:23], s[0:1], 0x20
	v_lshl_add_u32 v19, v0, 2, 0
	s_mov_b32 s30, 0
	s_wait_kmcnt 0x0
	v_add_co_u32 v1, vcc_lo, s14, v17
	s_delay_alu instid0(VALU_DEP_1)
	v_add_co_ci_u32_e64 v2, null, s15, v18, vcc_lo
	v_add_co_u32 v3, vcc_lo, s16, v17
	s_wait_alu 0xfffd
	v_add_co_ci_u32_e64 v4, null, s17, v18, vcc_lo
	v_add_co_u32 v13, vcc_lo, s18, v17
	s_wait_alu 0xfffd
	v_add_co_ci_u32_e64 v14, null, s19, v18, vcc_lo
	global_load_b128 v[5:8], v[1:2], off
	global_load_b128 v[9:12], v[3:4], off
	;; [unrolled: 1-line block ×3, first 2 shown]
	v_mov_b32_e32 v1, 0
	s_xor_b32 s17, s25, 0x80000000
	s_mov_b32 s14, s24
	s_mov_b32 s15, s24
	s_mov_b32 s16, s24
	v_dual_mov_b32 v2, v1 :: v_dual_mov_b32 v3, v1
	v_mov_b32_e32 v4, v1
	s_mov_b32 s18, s24
	s_wait_alu 0xfffe
	s_mov_b32 s19, s17
	s_mov_b32 s24, s17
	;; [unrolled: 1-line block ×3, first 2 shown]
	s_branch .LBB1_3
.LBB1_2:                                ;   in Loop: Header=BB1_3 Depth=1
	s_add_co_i32 s30, s7, s30
	s_wait_loadcnt 0x0
	s_wait_alu 0xfffe
	s_cmp_ge_i32 s30, s26
	s_barrier_signal -1
	s_barrier_wait -1
	global_inv scope:SCOPE_SE
	s_cbranch_scc1 .LBB1_9
.LBB1_3:                                ; =>This Loop Header: Depth=1
                                        ;     Child Loop BB1_7 Depth 2
	s_add_co_i32 s0, s7, s30
	v_add_nc_u32_e32 v20, s30, v0
	s_sub_co_i32 s1, s26, s30
	s_wait_alu 0xfffe
	s_cmp_gt_i32 s0, s26
	s_cselect_b32 s7, s1, s7
	s_mov_b32 s1, exec_lo
	v_cmpx_gt_i32_e64 s26, v20
	s_cbranch_execz .LBB1_5
; %bb.4:                                ;   in Loop: Header=BB1_3 Depth=1
	v_ashrrev_i32_e32 v21, 31, v20
	s_delay_alu instid0(VALU_DEP_1) | instskip(NEXT) | instid1(VALU_DEP_1)
	v_lshlrev_b64_e32 v[20:21], 2, v[20:21]
	v_add_co_u32 v22, vcc_lo, s8, v20
	s_wait_alu 0xfffd
	s_delay_alu instid0(VALU_DEP_2)
	v_add_co_ci_u32_e64 v23, null, s9, v21, vcc_lo
	v_add_co_u32 v24, vcc_lo, s10, v20
	s_wait_alu 0xfffd
	v_add_co_ci_u32_e64 v25, null, s11, v21, vcc_lo
	v_add_co_u32 v26, vcc_lo, s12, v20
	s_wait_alu 0xfffd
	;; [unrolled: 3-line block ×4, first 2 shown]
	v_add_co_ci_u32_e64 v21, null, s23, v21, vcc_lo
	global_load_b32 v22, v[22:23], off
	global_load_b32 v23, v[24:25], off
	;; [unrolled: 1-line block ×5, first 2 shown]
	s_wait_alu 0xfffe
	v_mad_co_u64_u32 v[20:21], null, s7, 12, v[19:20]
	v_lshl_add_u32 v21, s7, 2, v19
	v_lshl_add_u32 v27, s7, 3, v19
	;; [unrolled: 1-line block ×3, first 2 shown]
	s_wait_loadcnt 0x4
	ds_store_b32 v19, v22
	s_wait_loadcnt 0x3
	ds_store_b32 v21, v23
	;; [unrolled: 2-line block ×5, first 2 shown]
.LBB1_5:                                ;   in Loop: Header=BB1_3 Depth=1
	s_wait_alu 0xfffe
	s_or_b32 exec_lo, exec_lo, s1
	s_cmp_lt_i32 s7, 1
	s_wait_loadcnt_dscnt 0x0
	s_barrier_signal -1
	s_barrier_wait -1
	global_inv scope:SCOPE_SE
	s_cbranch_scc1 .LBB1_2
; %bb.6:                                ;   in Loop: Header=BB1_3 Depth=1
	s_min_i32 s0, s26, s0
	s_lshl_b32 s1, s30, 2
	s_wait_alu 0xfffe
	s_lshl_b32 s0, s0, 2
	s_lshl_b32 s31, s7, 3
	s_mul_i32 s33, s7, 12
	s_lshl_b32 s34, s7, 4
	s_wait_alu 0xfffe
	s_sub_co_i32 s35, s0, s1
	s_mov_b32 s36, 0
	s_mov_b32 s37, 0
.LBB1_7:                                ;   Parent Loop BB1_3 Depth=1
                                        ; =>  This Inner Loop Header: Depth=2
	s_wait_alu 0xfffe
	s_add_co_i32 s0, s37, s35
	s_wait_alu 0xfffe
	v_dual_mov_b32 v20, s37 :: v_dual_mov_b32 v21, s0
	s_add_co_i32 s1, s37, s31
	s_add_co_i32 s3, s37, s34
	;; [unrolled: 1-line block ×3, first 2 shown]
	s_wait_alu 0xfffe
	v_dual_mov_b32 v22, s1 :: v_dual_mov_b32 v23, s2
	v_mov_b32_e32 v24, s3
	ds_load_b32 v20, v20
	ds_load_b32 v21, v21
	;; [unrolled: 1-line block ×5, first 2 shown]
	s_add_co_i32 s36, s36, 1
	s_add_co_i32 s37, s37, 4
	s_wait_alu 0xfffe
	s_cmp_ge_i32 s36, s7
	s_wait_dscnt 0x3
	v_dual_sub_f32 v27, v6, v20 :: v_dual_sub_f32 v28, v9, v21
	v_sub_f32_e32 v25, v8, v20
	v_dual_sub_f32 v26, v7, v20 :: v_dual_sub_f32 v29, v10, v21
	v_sub_f32_e32 v20, v5, v20
	s_wait_dscnt 0x2
	v_dual_sub_f32 v30, v11, v21 :: v_dual_sub_f32 v31, v13, v22
	v_sub_f32_e32 v21, v12, v21
	v_dual_sub_f32 v33, v15, v22 :: v_dual_mul_f32 v28, v28, v28
	v_dual_sub_f32 v32, v14, v22 :: v_dual_mul_f32 v29, v29, v29
	s_delay_alu instid0(VALU_DEP_3) | instskip(NEXT) | instid1(VALU_DEP_3)
	v_dual_sub_f32 v22, v16, v22 :: v_dual_mul_f32 v21, v21, v21
	v_fmac_f32_e32 v28, v20, v20
	s_delay_alu instid0(VALU_DEP_3) | instskip(SKIP_2) | instid1(VALU_DEP_3)
	v_dual_mul_f32 v30, v30, v30 :: v_dual_fmac_f32 v29, v27, v27
	s_wait_dscnt 0x1
	v_fma_f32 v34, s25, v24, 1.0
	v_dual_fmac_f32 v21, v25, v25 :: v_dual_fmac_f32 v28, v31, v31
	s_delay_alu instid0(VALU_DEP_3) | instskip(NEXT) | instid1(VALU_DEP_2)
	v_dual_fmac_f32 v30, v26, v26 :: v_dual_fmac_f32 v29, v32, v32
	v_dual_fmac_f32 v21, v22, v22 :: v_dual_mul_f32 v20, 0x4f800000, v28
	v_cmp_gt_f32_e64 s2, 0xf800000, v28
	s_delay_alu instid0(VALU_DEP_3) | instskip(SKIP_1) | instid1(VALU_DEP_4)
	v_mul_f32_e32 v22, 0x4f800000, v29
	v_cmp_gt_f32_e32 vcc_lo, 0xf800000, v29
	v_mul_f32_e32 v26, 0x4f800000, v21
	v_cmp_gt_f32_e64 s1, 0xf800000, v21
	s_wait_alu 0xf1ff
	v_cndmask_b32_e64 v20, v28, v20, s2
	s_wait_alu 0xfffd
	v_cndmask_b32_e32 v22, v29, v22, vcc_lo
	v_cndmask_b32_e64 v21, v21, v26, s1
	s_delay_alu instid0(VALU_DEP_3) | instskip(SKIP_1) | instid1(VALU_DEP_2)
	v_sqrt_f32_e32 v26, v20
	v_fmac_f32_e32 v30, v33, v33
	v_sqrt_f32_e32 v29, v21
	s_delay_alu instid0(TRANS32_DEP_2) | instskip(NEXT) | instid1(VALU_DEP_2)
	v_add_nc_u32_e32 v31, 1, v26
	v_mul_f32_e32 v25, 0x4f800000, v30
	v_cmp_gt_f32_e64 s0, 0xf800000, v30
	s_delay_alu instid0(TRANS32_DEP_1)
	v_add_nc_u32_e32 v37, -1, v29
	v_sqrt_f32_e32 v27, v22
	v_fma_f32 v40, -v31, v26, v20
	s_wait_alu 0xf1ff
	v_cndmask_b32_e64 v25, v30, v25, s0
	v_add_nc_u32_e32 v30, -1, v26
	v_fma_f32 v45, -v37, v29, v21
	v_cmp_lt_f32_e64 s6, 0, v40
	s_delay_alu instid0(VALU_DEP_4) | instskip(NEXT) | instid1(VALU_DEP_3)
	v_sqrt_f32_e32 v28, v25
	v_fma_f32 v39, -v30, v26, v20
	s_delay_alu instid0(VALU_DEP_3) | instskip(SKIP_1) | instid1(VALU_DEP_3)
	v_cmp_ge_f32_e64 s5, 0, v45
	v_add_nc_u32_e32 v33, 1, v27
	v_cmp_ge_f32_e64 s3, 0, v39
	s_delay_alu instid0(VALU_DEP_2) | instskip(NEXT) | instid1(TRANS32_DEP_1)
	v_fma_f32 v42, -v33, v27, v22
	v_add_nc_u32_e32 v35, -1, v28
	v_add_nc_u32_e32 v36, 1, v28
	s_wait_alu 0xf1ff
	v_cndmask_b32_e64 v26, v26, v30, s3
	s_delay_alu instid0(VALU_DEP_3) | instskip(NEXT) | instid1(VALU_DEP_3)
	v_fma_f32 v43, -v35, v28, v25
	v_fma_f32 v44, -v36, v28, v25
	s_delay_alu instid0(VALU_DEP_3) | instskip(NEXT) | instid1(VALU_DEP_3)
	v_cndmask_b32_e64 v26, v26, v31, s6
	v_cmp_ge_f32_e64 s4, 0, v43
	s_wait_alu 0xf1ff
	s_delay_alu instid0(VALU_DEP_1) | instskip(SKIP_2) | instid1(VALU_DEP_1)
	v_cndmask_b32_e64 v28, v28, v35, s4
	v_cmp_lt_f32_e64 s4, 0, v44
	s_wait_alu 0xf1ff
	v_cndmask_b32_e64 v28, v28, v36, s4
	v_add_nc_u32_e32 v32, -1, v27
	s_delay_alu instid0(VALU_DEP_1) | instskip(NEXT) | instid1(VALU_DEP_1)
	v_fma_f32 v41, -v32, v27, v22
	v_cmp_ge_f32_e64 s3, 0, v41
	s_wait_alu 0xf1ff
	s_delay_alu instid0(VALU_DEP_1) | instskip(SKIP_2) | instid1(VALU_DEP_1)
	v_cndmask_b32_e64 v27, v27, v32, s3
	v_cmp_lt_f32_e64 s3, 0, v42
	s_wait_alu 0xf1ff
	v_cndmask_b32_e64 v27, v27, v33, s3
	v_mul_f32_e32 v33, 0x37800000, v28
	s_delay_alu instid0(VALU_DEP_2) | instskip(NEXT) | instid1(VALU_DEP_2)
	v_mul_f32_e32 v31, 0x37800000, v27
	v_cndmask_b32_e64 v28, v28, v33, s0
	v_cmp_class_f32_e64 s0, v25, 0x260
	s_delay_alu instid0(VALU_DEP_3) | instskip(SKIP_2) | instid1(VALU_DEP_3)
	v_cndmask_b32_e32 v27, v27, v31, vcc_lo
	v_cmp_class_f32_e64 vcc_lo, v22, 0x260
	s_wait_alu 0xf1ff
	v_cndmask_b32_e64 v25, v28, v25, s0
	v_mul_f32_e32 v30, 0x37800000, v26
	s_wait_dscnt 0x0
	s_delay_alu instid0(VALU_DEP_2) | instskip(NEXT) | instid1(VALU_DEP_2)
	v_div_scale_f32 v28, null, v25, v25, v23
	v_cndmask_b32_e64 v26, v26, v30, s2
	v_cmp_class_f32_e64 s2, v20, 0x260
	s_delay_alu instid0(VALU_DEP_3) | instskip(SKIP_1) | instid1(VALU_DEP_1)
	v_rcp_f32_e32 v39, v28
	s_wait_alu 0xf1ff
	v_cndmask_b32_e64 v20, v26, v20, s2
	s_delay_alu instid0(VALU_DEP_1) | instskip(NEXT) | instid1(VALU_DEP_1)
	v_dual_sub_f32 v35, v20, v24 :: v_dual_add_nc_u32 v38, 1, v29
	v_fma_f32 v46, -v38, v29, v21
	v_cndmask_b32_e64 v29, v29, v37, s5
	s_wait_alu 0xfffd
	v_dual_sub_f32 v37, v25, v24 :: v_dual_cndmask_b32 v22, v27, v22
	v_mul_f32_e32 v35, s17, v35
	v_cmp_lt_f32_e64 s5, 0, v46
	v_fma_f32 v47, -v28, v39, 1.0
	s_delay_alu instid0(VALU_DEP_4)
	v_dual_mul_f32 v37, s24, v37 :: v_dual_sub_f32 v36, v22, v24
	v_div_scale_f32 v30, null, v22, v22, v23
	s_wait_alu 0xf1ff
	v_cndmask_b32_e64 v29, v29, v38, s5
	v_fmac_f32_e32 v39, v47, v39
	v_div_scale_f32 v33, s2, v23, v20, v23
	v_rcp_f32_e32 v40, v30
	s_delay_alu instid0(VALU_DEP_3) | instskip(SKIP_2) | instid1(VALU_DEP_3)
	v_mul_f32_e32 v32, 0x37800000, v29
	v_cmp_ngt_f32_e64 s3, 0xc2ce8ed0, v35
	v_cmp_ngt_f32_e64 s5, 0xc2ce8ed0, v37
	v_cndmask_b32_e64 v29, v29, v32, s1
	v_div_scale_f32 v32, null, v20, v20, v23
	v_cmp_class_f32_e64 s1, v21, 0x260
	s_delay_alu instid0(TRANS32_DEP_1) | instskip(NEXT) | instid1(VALU_DEP_3)
	v_fma_f32 v48, -v30, v40, 1.0
	v_rcp_f32_e32 v41, v32
	s_wait_alu 0xf1ff
	s_delay_alu instid0(VALU_DEP_2) | instskip(SKIP_2) | instid1(VALU_DEP_3)
	v_cndmask_b32_e64 v21, v29, v21, s1
	v_div_scale_f32 v29, s0, v23, v25, v23
	v_div_scale_f32 v31, s1, v23, v22, v23
	v_div_scale_f32 v26, null, v21, v21, v23
	v_div_scale_f32 v27, vcc_lo, v23, v21, v23
	s_delay_alu instid0(TRANS32_DEP_1) | instskip(SKIP_1) | instid1(VALU_DEP_4)
	v_fma_f32 v49, -v32, v41, 1.0
	v_mul_f32_e32 v36, s19, v36
	v_rcp_f32_e32 v38, v26
	s_delay_alu instid0(VALU_DEP_2) | instskip(NEXT) | instid1(VALU_DEP_2)
	v_dual_fmac_f32 v41, v49, v41 :: v_dual_mul_f32 v42, 0x3fb8aa3b, v35
	v_mul_f32_e32 v43, 0x3fb8aa3b, v36
	v_cmp_ngt_f32_e64 s4, 0xc2ce8ed0, v36
	s_delay_alu instid0(VALU_DEP_3) | instskip(NEXT) | instid1(VALU_DEP_3)
	v_fma_f32 v50, 0x3fb8aa3b, v35, -v42
	v_rndne_f32_e32 v53, v43
	v_sub_f32_e32 v24, v21, v24
	s_delay_alu instid0(TRANS32_DEP_1) | instskip(SKIP_2) | instid1(VALU_DEP_4)
	v_fma_f32 v46, -v26, v38, 1.0
	v_fma_f32 v52, 0x3fb8aa3b, v36, -v43
	v_rndne_f32_e32 v51, v42
	v_dual_sub_f32 v43, v43, v53 :: v_dual_mul_f32 v24, s27, v24
	v_mul_f32_e32 v44, 0x3fb8aa3b, v37
	v_fmac_f32_e32 v38, v46, v38
	s_delay_alu instid0(VALU_DEP_4)
	v_sub_f32_e32 v42, v42, v51
	v_cvt_i32_f32_e32 v46, v51
	v_mul_f32_e32 v45, 0x3fb8aa3b, v24
	v_rndne_f32_e32 v55, v44
	v_cvt_i32_f32_e32 v47, v53
	v_dual_mul_f32 v53, v29, v39 :: v_dual_fmac_f32 v40, v48, v40
	v_mul_f32_e32 v51, v27, v38
	v_fma_f32 v56, 0x3fb8aa3b, v24, -v45
	v_rndne_f32_e32 v57, v45
	v_fmac_f32_e32 v50, 0x32a5705f, v35
	v_fma_f32 v54, 0x3fb8aa3b, v37, -v44
	v_cvt_i32_f32_e32 v48, v55
	s_delay_alu instid0(VALU_DEP_4)
	v_dual_sub_f32 v45, v45, v57 :: v_dual_fmac_f32 v56, 0x32a5705f, v24
	v_sub_f32_e32 v44, v44, v55
	v_cvt_i32_f32_e32 v49, v57
	v_mul_f32_e32 v55, v31, v40
	v_dual_mul_f32 v57, v33, v41 :: v_dual_add_f32 v42, v42, v50
	v_fma_f32 v50, -v26, v51, v27
	v_fmac_f32_e32 v52, 0x32a5705f, v36
	v_cmp_ngt_f32_e64 s6, 0xc2ce8ed0, v24
	s_delay_alu instid0(VALU_DEP_3) | instskip(NEXT) | instid1(VALU_DEP_3)
	v_dual_fmac_f32 v51, v50, v38 :: v_dual_fmac_f32 v54, 0x32a5705f, v37
	v_add_f32_e32 v43, v43, v52
	v_fma_f32 v52, -v28, v53, v29
	s_delay_alu instid0(VALU_DEP_3) | instskip(NEXT) | instid1(VALU_DEP_3)
	v_fma_f32 v26, -v26, v51, v27
	v_exp_f32_e32 v43, v43
	s_delay_alu instid0(VALU_DEP_2)
	v_fmac_f32_e32 v53, v52, v39
	v_add_f32_e32 v45, v45, v56
	v_fma_f32 v56, -v32, v57, v33
	v_add_f32_e32 v44, v44, v54
	v_fma_f32 v54, -v30, v55, v31
	v_fma_f32 v27, -v28, v53, v29
	v_exp_f32_e32 v45, v45
	v_fmac_f32_e32 v57, v56, v41
	v_exp_f32_e32 v42, v42
	v_fmac_f32_e32 v55, v54, v40
	v_exp_f32_e32 v44, v44
	s_wait_alu 0xfffd
	v_div_fmas_f32 v26, v26, v38, v51
	v_fma_f32 v29, -v32, v57, v33
	s_mov_b32 vcc_lo, s0
	v_fma_f32 v28, -v30, v55, v31
	v_ldexp_f32 v31, v43, v47
	v_ldexp_f32 v33, v45, v49
	v_div_fixup_f32 v21, v26, v21, v23
	v_ldexp_f32 v30, v42, v46
	v_ldexp_f32 v32, v44, v48
	s_delay_alu instid0(VALU_DEP_4)
	v_cndmask_b32_e64 v33, 0, v33, s6
	v_cmp_nlt_f32_e64 s6, 0x42b17218, v24
	s_wait_alu 0xfffe
	v_div_fmas_f32 v24, v27, v39, v53
	s_mov_b32 vcc_lo, s1
	v_cndmask_b32_e64 v31, 0, v31, s4
	s_wait_alu 0xfffe
	v_div_fmas_f32 v27, v28, v40, v55
	s_mov_b32 vcc_lo, s2
	v_cmp_nlt_f32_e64 s4, 0x42b17218, v36
	s_wait_alu 0xfffe
	v_div_fmas_f32 v29, v29, v41, v57
	v_cndmask_b32_e64 v30, 0, v30, s3
	v_cmp_nlt_f32_e64 s3, 0x42b17218, v35
	v_cndmask_b32_e64 v32, 0, v32, s5
	v_cmp_nlt_f32_e64 s5, 0x42b17218, v37
	s_wait_alu 0xf1ff
	v_cndmask_b32_e64 v28, 0x7f800000, v31, s4
	v_cndmask_b32_e64 v31, 0x7f800000, v33, s6
	v_div_fixup_f32 v24, v24, v25, v23
	v_div_fixup_f32 v22, v27, v22, v23
	v_mul_f32_e32 v21, s18, v21
	v_div_fixup_f32 v20, v29, v20, v23
	v_cndmask_b32_e64 v26, 0x7f800000, v30, s3
	v_cndmask_b32_e64 v30, 0x7f800000, v32, s5
	s_delay_alu instid0(VALU_DEP_4) | instskip(NEXT) | instid1(VALU_DEP_4)
	v_dual_mul_f32 v22, s15, v22 :: v_dual_mul_f32 v21, v21, v31
	v_mul_f32_e32 v20, s14, v20
	v_mul_f32_e32 v23, s16, v24
	s_delay_alu instid0(VALU_DEP_3) | instskip(NEXT) | instid1(VALU_DEP_4)
	v_mul_f32_e32 v22, v22, v28
	v_div_scale_f32 v24, null, v34, v34, v21
	s_delay_alu instid0(VALU_DEP_4) | instskip(NEXT) | instid1(VALU_DEP_4)
	v_mul_f32_e32 v20, v20, v26
	v_mul_f32_e32 v23, v23, v30
	s_delay_alu instid0(VALU_DEP_4) | instskip(NEXT) | instid1(VALU_DEP_4)
	v_div_scale_f32 v28, null, v34, v34, v22
	v_rcp_f32_e32 v30, v24
	s_delay_alu instid0(VALU_DEP_3) | instskip(NEXT) | instid1(VALU_DEP_3)
	v_div_scale_f32 v31, null, v34, v34, v20
	v_div_scale_f32 v26, null, v34, v34, v23
	s_delay_alu instid0(VALU_DEP_3) | instskip(NEXT) | instid1(VALU_DEP_2)
	v_rcp_f32_e32 v35, v28
	v_rcp_f32_e32 v36, v31
	v_div_scale_f32 v25, s0, v21, v34, v21
	s_delay_alu instid0(VALU_DEP_2) | instskip(SKIP_3) | instid1(TRANS32_DEP_3)
	v_rcp_f32_e32 v33, v26
	v_fma_f32 v37, -v24, v30, 1.0
	v_div_scale_f32 v27, s1, v23, v34, v23
	v_div_scale_f32 v32, vcc_lo, v20, v34, v20
	v_fma_f32 v39, -v28, v35, 1.0
	v_div_scale_f32 v29, s2, v22, v34, v22
	s_delay_alu instid0(TRANS32_DEP_1) | instskip(SKIP_3) | instid1(VALU_DEP_3)
	v_fma_f32 v38, -v26, v33, 1.0
	v_fmac_f32_e32 v30, v37, v30
	v_fma_f32 v37, -v31, v36, 1.0
	v_fmac_f32_e32 v35, v39, v35
	v_dual_fmac_f32 v33, v38, v33 :: v_dual_mul_f32 v38, v25, v30
	s_delay_alu instid0(VALU_DEP_1) | instskip(NEXT) | instid1(VALU_DEP_2)
	v_dual_fmac_f32 v36, v37, v36 :: v_dual_mul_f32 v37, v27, v33
	v_fma_f32 v40, -v24, v38, v25
	s_delay_alu instid0(VALU_DEP_2) | instskip(SKIP_1) | instid1(VALU_DEP_4)
	v_mul_f32_e32 v41, v32, v36
	v_mul_f32_e32 v39, v29, v35
	v_fma_f32 v42, -v26, v37, v27
	s_delay_alu instid0(VALU_DEP_4) | instskip(NEXT) | instid1(VALU_DEP_4)
	v_fmac_f32_e32 v38, v40, v30
	v_fma_f32 v40, -v31, v41, v32
	s_delay_alu instid0(VALU_DEP_4) | instskip(NEXT) | instid1(VALU_DEP_4)
	v_fma_f32 v43, -v28, v39, v29
	v_fmac_f32_e32 v37, v42, v33
	s_delay_alu instid0(VALU_DEP_4) | instskip(NEXT) | instid1(VALU_DEP_4)
	v_fma_f32 v24, -v24, v38, v25
	v_fmac_f32_e32 v41, v40, v36
	s_delay_alu instid0(VALU_DEP_4) | instskip(NEXT) | instid1(VALU_DEP_4)
	v_fmac_f32_e32 v39, v43, v35
	v_fma_f32 v25, -v26, v37, v27
	s_delay_alu instid0(VALU_DEP_3) | instskip(NEXT) | instid1(VALU_DEP_3)
	v_fma_f32 v27, -v31, v41, v32
	v_fma_f32 v26, -v28, v39, v29
	s_wait_alu 0xfffd
	s_delay_alu instid0(VALU_DEP_2)
	v_div_fmas_f32 v27, v27, v36, v41
	s_mov_b32 vcc_lo, s2
	s_wait_alu 0xfffe
	v_div_fmas_f32 v26, v26, v35, v39
	s_mov_b32 vcc_lo, s1
	v_div_fixup_f32 v20, v27, v34, v20
	s_wait_alu 0xfffe
	v_div_fmas_f32 v25, v25, v33, v37
	s_mov_b32 vcc_lo, s0
	v_div_fixup_f32 v22, v26, v34, v22
	s_wait_alu 0xfffe
	v_div_fmas_f32 v24, v24, v30, v38
	v_add_f32_e32 v1, v1, v20
	v_div_fixup_f32 v23, v25, v34, v23
	v_add_f32_e32 v2, v2, v22
	s_delay_alu instid0(VALU_DEP_4) | instskip(NEXT) | instid1(VALU_DEP_1)
	v_div_fixup_f32 v21, v24, v34, v21
	v_dual_add_f32 v3, v3, v23 :: v_dual_add_f32 v4, v4, v21
	s_cbranch_scc0 .LBB1_7
	s_branch .LBB1_2
.LBB1_8:
	v_mov_b32_e32 v1, 0
	s_delay_alu instid0(VALU_DEP_1)
	v_dual_mov_b32 v2, v1 :: v_dual_mov_b32 v3, v1
	v_mov_b32_e32 v4, v1
.LBB1_9:
	s_delay_alu instid0(VALU_DEP_4)
	v_add_co_u32 v5, vcc_lo, s28, v17
	s_wait_alu 0xfffd
	v_add_co_ci_u32_e64 v6, null, s29, v18, vcc_lo
	global_store_b128 v[5:6], v[1:4], off
	s_endpgm
	.section	.rodata,"a",@progbits
	.p2align	6, 0x0
	.amdhsa_kernel _Z4mdh2PKfS0_S0_S0_S0_S0_S0_S0_Pfffi
		.amdhsa_group_segment_fixed_size 0
		.amdhsa_private_segment_fixed_size 0
		.amdhsa_kernarg_size 344
		.amdhsa_user_sgpr_count 2
		.amdhsa_user_sgpr_dispatch_ptr 0
		.amdhsa_user_sgpr_queue_ptr 0
		.amdhsa_user_sgpr_kernarg_segment_ptr 1
		.amdhsa_user_sgpr_dispatch_id 0
		.amdhsa_user_sgpr_private_segment_size 0
		.amdhsa_wavefront_size32 1
		.amdhsa_uses_dynamic_stack 0
		.amdhsa_enable_private_segment 0
		.amdhsa_system_sgpr_workgroup_id_x 1
		.amdhsa_system_sgpr_workgroup_id_y 0
		.amdhsa_system_sgpr_workgroup_id_z 0
		.amdhsa_system_sgpr_workgroup_info 0
		.amdhsa_system_vgpr_workitem_id 0
		.amdhsa_next_free_vgpr 58
		.amdhsa_next_free_sgpr 38
		.amdhsa_reserve_vcc 1
		.amdhsa_float_round_mode_32 0
		.amdhsa_float_round_mode_16_64 0
		.amdhsa_float_denorm_mode_32 3
		.amdhsa_float_denorm_mode_16_64 3
		.amdhsa_fp16_overflow 0
		.amdhsa_workgroup_processor_mode 1
		.amdhsa_memory_ordered 1
		.amdhsa_forward_progress 1
		.amdhsa_inst_pref_size 23
		.amdhsa_round_robin_scheduling 0
		.amdhsa_exception_fp_ieee_invalid_op 0
		.amdhsa_exception_fp_denorm_src 0
		.amdhsa_exception_fp_ieee_div_zero 0
		.amdhsa_exception_fp_ieee_overflow 0
		.amdhsa_exception_fp_ieee_underflow 0
		.amdhsa_exception_fp_ieee_inexact 0
		.amdhsa_exception_int_div_zero 0
	.end_amdhsa_kernel
	.text
.Lfunc_end1:
	.size	_Z4mdh2PKfS0_S0_S0_S0_S0_S0_S0_Pfffi, .Lfunc_end1-_Z4mdh2PKfS0_S0_S0_S0_S0_S0_S0_Pfffi
                                        ; -- End function
	.set _Z4mdh2PKfS0_S0_S0_S0_S0_S0_S0_Pfffi.num_vgpr, 58
	.set _Z4mdh2PKfS0_S0_S0_S0_S0_S0_S0_Pfffi.num_agpr, 0
	.set _Z4mdh2PKfS0_S0_S0_S0_S0_S0_S0_Pfffi.numbered_sgpr, 38
	.set _Z4mdh2PKfS0_S0_S0_S0_S0_S0_S0_Pfffi.num_named_barrier, 0
	.set _Z4mdh2PKfS0_S0_S0_S0_S0_S0_S0_Pfffi.private_seg_size, 0
	.set _Z4mdh2PKfS0_S0_S0_S0_S0_S0_S0_Pfffi.uses_vcc, 1
	.set _Z4mdh2PKfS0_S0_S0_S0_S0_S0_S0_Pfffi.uses_flat_scratch, 0
	.set _Z4mdh2PKfS0_S0_S0_S0_S0_S0_S0_Pfffi.has_dyn_sized_stack, 0
	.set _Z4mdh2PKfS0_S0_S0_S0_S0_S0_S0_Pfffi.has_recursion, 0
	.set _Z4mdh2PKfS0_S0_S0_S0_S0_S0_S0_Pfffi.has_indirect_call, 0
	.section	.AMDGPU.csdata,"",@progbits
; Kernel info:
; codeLenInByte = 2840
; TotalNumSgprs: 40
; NumVgprs: 58
; ScratchSize: 0
; MemoryBound: 0
; FloatMode: 240
; IeeeMode: 1
; LDSByteSize: 0 bytes/workgroup (compile time only)
; SGPRBlocks: 0
; VGPRBlocks: 7
; NumSGPRsForWavesPerEU: 40
; NumVGPRsForWavesPerEU: 58
; Occupancy: 16
; WaveLimiterHint : 0
; COMPUTE_PGM_RSRC2:SCRATCH_EN: 0
; COMPUTE_PGM_RSRC2:USER_SGPR: 2
; COMPUTE_PGM_RSRC2:TRAP_HANDLER: 0
; COMPUTE_PGM_RSRC2:TGID_X_EN: 1
; COMPUTE_PGM_RSRC2:TGID_Y_EN: 0
; COMPUTE_PGM_RSRC2:TGID_Z_EN: 0
; COMPUTE_PGM_RSRC2:TIDIG_COMP_CNT: 0
	.text
	.protected	_Z4mdh3PKfS0_S0_S0_S0_S0_S0_S0_Pfffi ; -- Begin function _Z4mdh3PKfS0_S0_S0_S0_S0_S0_S0_Pfffi
	.globl	_Z4mdh3PKfS0_S0_S0_S0_S0_S0_S0_Pfffi
	.p2align	8
	.type	_Z4mdh3PKfS0_S0_S0_S0_S0_S0_S0_Pfffi,@function
_Z4mdh3PKfS0_S0_S0_S0_S0_S0_S0_Pfffi:   ; @_Z4mdh3PKfS0_S0_S0_S0_S0_S0_S0_Pfffi
; %bb.0:
	s_clause 0x2
	s_load_b32 s2, s[0:1], 0x64
	s_load_b96 s[20:22], s[0:1], 0x48
	s_load_b64 s[24:25], s[0:1], 0x40
	s_wait_kmcnt 0x0
	s_and_b32 s3, s2, 0xffff
	s_cmp_lt_i32 s22, 1
	v_mad_co_u64_u32 v[1:2], null, ttmp9, s3, v[0:1]
	s_delay_alu instid0(VALU_DEP_1) | instskip(NEXT) | instid1(VALU_DEP_1)
	v_ashrrev_i32_e32 v2, 31, v1
	v_lshlrev_b64_e32 v[17:18], 4, v[1:2]
	s_cbranch_scc1 .LBB2_8
; %bb.1:
	s_clause 0x1
	s_load_b256 s[4:11], s[0:1], 0x0
	s_load_b256 s[12:19], s[0:1], 0x20
	v_lshl_add_u32 v19, v0, 2, 0
	s_mov_b32 s26, 0
	s_wait_kmcnt 0x0
	v_add_co_u32 v1, vcc_lo, s10, v17
	s_delay_alu instid0(VALU_DEP_1)
	v_add_co_ci_u32_e64 v2, null, s11, v18, vcc_lo
	v_add_co_u32 v3, vcc_lo, s12, v17
	s_wait_alu 0xfffd
	v_add_co_ci_u32_e64 v4, null, s13, v18, vcc_lo
	v_add_co_u32 v13, vcc_lo, s14, v17
	s_wait_alu 0xfffd
	v_add_co_ci_u32_e64 v14, null, s15, v18, vcc_lo
	global_load_b128 v[5:8], v[1:2], off
	global_load_b128 v[9:12], v[3:4], off
	;; [unrolled: 1-line block ×3, first 2 shown]
	v_mov_b32_e32 v1, 0
	s_xor_b32 s13, s21, 0x80000000
	s_mov_b32 s10, s20
	s_mov_b32 s11, s20
	;; [unrolled: 1-line block ×3, first 2 shown]
	v_dual_mov_b32 v2, v1 :: v_dual_mov_b32 v3, v1
	v_mov_b32_e32 v4, v1
	s_mov_b32 s14, s20
	s_wait_alu 0xfffe
	s_mov_b32 s15, s13
	s_mov_b32 s20, s13
	;; [unrolled: 1-line block ×3, first 2 shown]
	s_branch .LBB2_3
.LBB2_2:                                ;   in Loop: Header=BB2_3 Depth=1
	s_add_co_i32 s26, s3, s26
	s_wait_loadcnt 0x0
	s_wait_alu 0xfffe
	s_cmp_ge_i32 s26, s22
	s_barrier_signal -1
	s_barrier_wait -1
	global_inv scope:SCOPE_SE
	s_cbranch_scc1 .LBB2_9
.LBB2_3:                                ; =>This Loop Header: Depth=1
                                        ;     Child Loop BB2_7 Depth 2
	s_add_co_i32 s0, s3, s26
	v_add_nc_u32_e32 v20, s26, v0
	s_sub_co_i32 s1, s22, s26
	s_wait_alu 0xfffe
	s_cmp_gt_i32 s0, s22
	s_cselect_b32 s3, s1, s3
	s_mov_b32 s1, exec_lo
	v_cmpx_gt_i32_e64 s22, v20
	s_cbranch_execz .LBB2_5
; %bb.4:                                ;   in Loop: Header=BB2_3 Depth=1
	v_ashrrev_i32_e32 v21, 31, v20
	s_delay_alu instid0(VALU_DEP_1) | instskip(NEXT) | instid1(VALU_DEP_1)
	v_lshlrev_b64_e32 v[20:21], 2, v[20:21]
	v_add_co_u32 v22, vcc_lo, s4, v20
	s_wait_alu 0xfffd
	s_delay_alu instid0(VALU_DEP_2)
	v_add_co_ci_u32_e64 v23, null, s5, v21, vcc_lo
	v_add_co_u32 v24, vcc_lo, s6, v20
	s_wait_alu 0xfffd
	v_add_co_ci_u32_e64 v25, null, s7, v21, vcc_lo
	v_add_co_u32 v26, vcc_lo, s8, v20
	s_wait_alu 0xfffd
	;; [unrolled: 3-line block ×4, first 2 shown]
	v_add_co_ci_u32_e64 v21, null, s19, v21, vcc_lo
	global_load_b32 v22, v[22:23], off
	global_load_b32 v23, v[24:25], off
	;; [unrolled: 1-line block ×5, first 2 shown]
	s_wait_alu 0xfffe
	v_mad_co_u64_u32 v[20:21], null, s3, 12, v[19:20]
	v_lshl_add_u32 v21, s3, 2, v19
	v_lshl_add_u32 v27, s3, 3, v19
	;; [unrolled: 1-line block ×3, first 2 shown]
	s_wait_loadcnt 0x4
	ds_store_b32 v19, v22
	s_wait_loadcnt 0x3
	ds_store_b32 v21, v23
	;; [unrolled: 2-line block ×5, first 2 shown]
.LBB2_5:                                ;   in Loop: Header=BB2_3 Depth=1
	s_wait_alu 0xfffe
	s_or_b32 exec_lo, exec_lo, s1
	s_cmp_lt_i32 s3, 1
	s_wait_loadcnt_dscnt 0x0
	s_barrier_signal -1
	s_barrier_wait -1
	global_inv scope:SCOPE_SE
	s_cbranch_scc1 .LBB2_2
; %bb.6:                                ;   in Loop: Header=BB2_3 Depth=1
	s_min_i32 s0, s22, s0
	s_lshl_b32 s1, s26, 2
	s_wait_alu 0xfffe
	s_lshl_b32 s0, s0, 2
	s_lshl_b32 s27, s3, 3
	s_mul_i32 s28, s3, 12
	s_lshl_b32 s29, s3, 4
	s_wait_alu 0xfffe
	s_sub_co_i32 s30, s0, s1
	s_mov_b32 s31, 0
	s_mov_b32 s33, 0
.LBB2_7:                                ;   Parent Loop BB2_3 Depth=1
                                        ; =>  This Inner Loop Header: Depth=2
	s_wait_alu 0xfffe
	s_add_co_i32 s0, s33, s30
	s_wait_alu 0xfffe
	v_dual_mov_b32 v20, s33 :: v_dual_mov_b32 v21, s0
	s_add_co_i32 s1, s33, s27
	s_add_co_i32 s34, s33, s29
	;; [unrolled: 1-line block ×3, first 2 shown]
	s_wait_alu 0xfffe
	v_dual_mov_b32 v22, s1 :: v_dual_mov_b32 v23, s2
	v_mov_b32_e32 v24, s34
	ds_load_b32 v20, v20
	ds_load_b32 v21, v21
	ds_load_b32 v22, v22
	ds_load_b32 v24, v24
	ds_load_b32 v23, v23
	s_add_co_i32 s31, s31, 1
	s_add_co_i32 s33, s33, 4
	s_cmp_ge_i32 s31, s3
	s_wait_dscnt 0x3
	v_dual_sub_f32 v27, v6, v20 :: v_dual_sub_f32 v28, v9, v21
	v_sub_f32_e32 v25, v8, v20
	v_dual_sub_f32 v26, v7, v20 :: v_dual_sub_f32 v29, v10, v21
	v_sub_f32_e32 v20, v5, v20
	s_wait_dscnt 0x2
	v_dual_sub_f32 v30, v11, v21 :: v_dual_sub_f32 v31, v13, v22
	v_sub_f32_e32 v21, v12, v21
	v_dual_sub_f32 v33, v15, v22 :: v_dual_mul_f32 v28, v28, v28
	v_dual_sub_f32 v32, v14, v22 :: v_dual_mul_f32 v29, v29, v29
	s_delay_alu instid0(VALU_DEP_3) | instskip(NEXT) | instid1(VALU_DEP_3)
	v_dual_sub_f32 v22, v16, v22 :: v_dual_mul_f32 v21, v21, v21
	v_fmac_f32_e32 v28, v20, v20
	s_delay_alu instid0(VALU_DEP_3) | instskip(SKIP_2) | instid1(VALU_DEP_3)
	v_dual_mul_f32 v30, v30, v30 :: v_dual_fmac_f32 v29, v27, v27
	s_wait_dscnt 0x1
	v_fma_f32 v34, s21, v24, 1.0
	v_dual_fmac_f32 v21, v25, v25 :: v_dual_fmac_f32 v28, v31, v31
	s_delay_alu instid0(VALU_DEP_3) | instskip(NEXT) | instid1(VALU_DEP_2)
	v_dual_fmac_f32 v30, v26, v26 :: v_dual_fmac_f32 v29, v32, v32
	v_fmac_f32_e32 v21, v22, v22
	s_delay_alu instid0(VALU_DEP_3) | instskip(NEXT) | instid1(VALU_DEP_3)
	v_cmp_gt_f32_e32 vcc_lo, 0x800000, v28
	v_cmp_gt_f32_e64 s0, 0x800000, v29
	s_delay_alu instid0(VALU_DEP_3)
	v_cmp_gt_f32_e64 s1, 0x800000, v21
	s_wait_alu 0xfffd
	v_cndmask_b32_e64 v20, 0, 32, vcc_lo
	v_cndmask_b32_e64 v27, 0, -16, vcc_lo
	s_wait_alu 0xf1ff
	v_cndmask_b32_e64 v22, 0, 32, s0
	v_cndmask_b32_e64 v25, 0, 32, s1
	v_ldexp_f32 v20, v28, v20
	s_delay_alu instid0(VALU_DEP_3) | instskip(SKIP_1) | instid1(VALU_DEP_4)
	v_ldexp_f32 v22, v29, v22
	v_cndmask_b32_e64 v29, 0, -16, s1
	v_ldexp_f32 v21, v21, v25
	s_delay_alu instid0(VALU_DEP_4) | instskip(SKIP_2) | instid1(VALU_DEP_2)
	v_sqrt_f32_e32 v20, v20
	v_cndmask_b32_e64 v25, 0, -16, s0
	v_sqrt_f32_e32 v22, v22
	v_sqrt_f32_e32 v21, v21
	s_delay_alu instid0(TRANS32_DEP_3) | instskip(SKIP_1) | instid1(TRANS32_DEP_2)
	v_ldexp_f32 v20, v20, v27
	v_fmac_f32_e32 v30, v33, v33
	v_ldexp_f32 v22, v22, v25
	s_delay_alu instid0(TRANS32_DEP_1) | instskip(NEXT) | instid1(VALU_DEP_4)
	v_ldexp_f32 v21, v21, v29
	v_sub_f32_e32 v35, v20, v24
	s_delay_alu instid0(VALU_DEP_4) | instskip(SKIP_2) | instid1(VALU_DEP_3)
	v_cmp_gt_f32_e64 s2, 0x800000, v30
	s_wait_dscnt 0x0
	v_div_scale_f32 v32, null, v20, v20, v23
	v_dual_sub_f32 v36, v22, v24 :: v_dual_mul_f32 v35, s13, v35
	s_wait_alu 0xf1ff
	v_cndmask_b32_e64 v26, 0, 32, s2
	v_cndmask_b32_e64 v28, 0, -16, s2
	v_rcp_f32_e32 v41, v32
	v_div_scale_f32 v27, vcc_lo, v23, v21, v23
	s_delay_alu instid0(VALU_DEP_3) | instskip(SKIP_2) | instid1(VALU_DEP_3)
	v_ldexp_f32 v26, v30, v26
	v_div_scale_f32 v30, null, v22, v22, v23
	v_dual_mul_f32 v36, s15, v36 :: v_dual_mul_f32 v35, 0x3fb8aa3b, v35
	v_sqrt_f32_e32 v26, v26
	s_delay_alu instid0(VALU_DEP_2) | instskip(NEXT) | instid1(TRANS32_DEP_3)
	v_rcp_f32_e32 v40, v30
	v_fma_f32 v45, -v32, v41, 1.0
	v_div_scale_f32 v33, s2, v23, v20, v23
	v_div_scale_f32 v31, s1, v23, v22, v23
	v_exp_f32_e32 v35, v35
	s_delay_alu instid0(VALU_DEP_3) | instskip(NEXT) | instid1(TRANS32_DEP_3)
	v_fmac_f32_e32 v41, v45, v41
	v_ldexp_f32 v25, v26, v28
	v_div_scale_f32 v26, null, v21, v21, v23
	s_delay_alu instid0(TRANS32_DEP_2) | instskip(NEXT) | instid1(VALU_DEP_4)
	v_fma_f32 v44, -v30, v40, 1.0
	v_mul_f32_e32 v45, v33, v41
	s_delay_alu instid0(VALU_DEP_4) | instskip(NEXT) | instid1(VALU_DEP_4)
	v_div_scale_f32 v28, null, v25, v25, v23
	v_rcp_f32_e32 v38, v26
	v_div_scale_f32 v29, s0, v23, v25, v23
	s_delay_alu instid0(VALU_DEP_2) | instskip(SKIP_1) | instid1(VALU_DEP_1)
	v_rcp_f32_e32 v39, v28
	v_fma_f32 v49, -v32, v45, v33
	v_fmac_f32_e32 v45, v49, v41
	s_delay_alu instid0(TRANS32_DEP_2) | instskip(SKIP_1) | instid1(TRANS32_DEP_1)
	v_fma_f32 v42, -v26, v38, 1.0
	v_sub_f32_e32 v37, v25, v24
	v_fma_f32 v43, -v28, v39, 1.0
	v_mul_f32_e32 v36, 0x3fb8aa3b, v36
	s_delay_alu instid0(VALU_DEP_4) | instskip(NEXT) | instid1(VALU_DEP_4)
	v_fmac_f32_e32 v38, v42, v38
	v_dual_sub_f32 v24, v21, v24 :: v_dual_mul_f32 v37, s20, v37
	s_delay_alu instid0(VALU_DEP_4) | instskip(NEXT) | instid1(VALU_DEP_3)
	v_dual_fmac_f32 v39, v43, v39 :: v_dual_fmac_f32 v40, v44, v40
	v_mul_f32_e32 v42, v27, v38
	s_delay_alu instid0(VALU_DEP_3) | instskip(NEXT) | instid1(VALU_DEP_3)
	v_dual_mul_f32 v24, s23, v24 :: v_dual_mul_f32 v37, 0x3fb8aa3b, v37
	v_dual_mul_f32 v43, v29, v39 :: v_dual_mul_f32 v44, v31, v40
	s_delay_alu instid0(VALU_DEP_3) | instskip(NEXT) | instid1(VALU_DEP_3)
	v_fma_f32 v46, -v26, v42, v27
	v_mul_f32_e32 v24, 0x3fb8aa3b, v24
	s_delay_alu instid0(VALU_DEP_4) | instskip(NEXT) | instid1(VALU_DEP_3)
	v_exp_f32_e32 v37, v37
	v_fma_f32 v47, -v28, v43, v29
	v_fma_f32 v48, -v30, v44, v31
	v_fmac_f32_e32 v42, v46, v38
	v_exp_f32_e32 v24, v24
	v_exp_f32_e32 v36, v36
	v_fmac_f32_e32 v43, v47, v39
	s_delay_alu instid0(VALU_DEP_2) | instskip(NEXT) | instid1(VALU_DEP_2)
	v_fma_f32 v26, -v26, v42, v27
	v_fma_f32 v27, -v28, v43, v29
	;; [unrolled: 1-line block ×3, first 2 shown]
	s_wait_alu 0xfffd
	s_delay_alu instid0(VALU_DEP_3)
	v_div_fmas_f32 v26, v26, v38, v42
	s_mov_b32 vcc_lo, s0
	s_wait_alu 0xfffe
	v_div_fmas_f32 v27, v27, v39, v43
	s_mov_b32 vcc_lo, s1
	v_div_fixup_f32 v21, v26, v21, v23
	v_fmac_f32_e32 v44, v48, v40
	s_delay_alu instid0(VALU_DEP_3) | instskip(NEXT) | instid1(VALU_DEP_3)
	v_div_fixup_f32 v25, v27, v25, v23
	v_mul_f32_e32 v21, s14, v21
	s_delay_alu instid0(VALU_DEP_3) | instskip(SKIP_1) | instid1(VALU_DEP_1)
	v_fma_f32 v28, -v30, v44, v31
	s_wait_alu 0xfffe
	v_div_fmas_f32 v28, v28, v40, v44
	s_mov_b32 vcc_lo, s2
	s_wait_alu 0xfffe
	v_div_fmas_f32 v26, v29, v41, v45
	s_delay_alu instid0(VALU_DEP_2) | instskip(NEXT) | instid1(VALU_DEP_2)
	v_div_fixup_f32 v22, v28, v22, v23
	v_div_fixup_f32 v20, v26, v20, v23
	s_delay_alu instid0(VALU_DEP_2) | instskip(NEXT) | instid1(VALU_DEP_1)
	v_dual_mul_f32 v23, s12, v25 :: v_dual_mul_f32 v22, s11, v22
	v_dual_mul_f32 v20, s10, v20 :: v_dual_mul_f32 v23, v23, v37
	v_mul_f32_e32 v21, v21, v24
	s_delay_alu instid0(VALU_DEP_3) | instskip(NEXT) | instid1(VALU_DEP_3)
	v_mul_f32_e32 v22, v22, v36
	v_mul_f32_e32 v20, v20, v35
	s_delay_alu instid0(VALU_DEP_4) | instskip(NEXT) | instid1(VALU_DEP_4)
	v_div_scale_f32 v26, null, v34, v34, v23
	v_div_scale_f32 v24, null, v34, v34, v21
	s_delay_alu instid0(VALU_DEP_3) | instskip(NEXT) | instid1(VALU_DEP_3)
	v_div_scale_f32 v31, null, v34, v34, v20
	v_rcp_f32_e32 v33, v26
	s_delay_alu instid0(VALU_DEP_2) | instskip(SKIP_1) | instid1(VALU_DEP_2)
	v_rcp_f32_e32 v30, v24
	v_div_scale_f32 v28, null, v34, v34, v22
	v_rcp_f32_e32 v36, v31
	v_div_scale_f32 v25, s0, v21, v34, v21
	s_delay_alu instid0(VALU_DEP_2) | instskip(SKIP_2) | instid1(TRANS32_DEP_3)
	v_rcp_f32_e32 v35, v28
	v_div_scale_f32 v27, s1, v23, v34, v23
	v_fma_f32 v38, -v26, v33, 1.0
	v_fma_f32 v37, -v24, v30, 1.0
	v_div_scale_f32 v32, vcc_lo, v20, v34, v20
	s_delay_alu instid0(VALU_DEP_2) | instskip(NEXT) | instid1(TRANS32_DEP_2)
	v_dual_fmac_f32 v33, v38, v33 :: v_dual_fmac_f32 v30, v37, v30
	v_fma_f32 v37, -v31, v36, 1.0
	s_delay_alu instid0(TRANS32_DEP_1) | instskip(NEXT) | instid1(VALU_DEP_3)
	v_fma_f32 v39, -v28, v35, 1.0
	v_mul_f32_e32 v38, v25, v30
	s_delay_alu instid0(VALU_DEP_3) | instskip(NEXT) | instid1(VALU_DEP_3)
	v_dual_fmac_f32 v36, v37, v36 :: v_dual_mul_f32 v37, v27, v33
	v_fmac_f32_e32 v35, v39, v35
	v_div_scale_f32 v29, s2, v22, v34, v22
	s_delay_alu instid0(VALU_DEP_4) | instskip(NEXT) | instid1(VALU_DEP_4)
	v_fma_f32 v40, -v24, v38, v25
	v_fma_f32 v42, -v26, v37, v27
	s_delay_alu instid0(VALU_DEP_2) | instskip(NEXT) | instid1(VALU_DEP_2)
	v_dual_mul_f32 v39, v29, v35 :: v_dual_fmac_f32 v38, v40, v30
	v_fmac_f32_e32 v37, v42, v33
	v_mul_f32_e32 v41, v32, v36
	s_delay_alu instid0(VALU_DEP_3) | instskip(NEXT) | instid1(VALU_DEP_4)
	v_fma_f32 v43, -v28, v39, v29
	v_fma_f32 v24, -v24, v38, v25
	s_delay_alu instid0(VALU_DEP_4) | instskip(NEXT) | instid1(VALU_DEP_4)
	v_fma_f32 v25, -v26, v37, v27
	v_fma_f32 v40, -v31, v41, v32
	s_delay_alu instid0(VALU_DEP_4) | instskip(NEXT) | instid1(VALU_DEP_2)
	v_fmac_f32_e32 v39, v43, v35
	v_fmac_f32_e32 v41, v40, v36
	s_delay_alu instid0(VALU_DEP_2) | instskip(NEXT) | instid1(VALU_DEP_2)
	v_fma_f32 v26, -v28, v39, v29
	v_fma_f32 v27, -v31, v41, v32
	s_wait_alu 0xfffd
	s_delay_alu instid0(VALU_DEP_1)
	v_div_fmas_f32 v27, v27, v36, v41
	s_mov_b32 vcc_lo, s2
	s_wait_alu 0xfffe
	v_div_fmas_f32 v26, v26, v35, v39
	s_mov_b32 vcc_lo, s1
	v_div_fixup_f32 v20, v27, v34, v20
	s_wait_alu 0xfffe
	v_div_fmas_f32 v25, v25, v33, v37
	s_mov_b32 vcc_lo, s0
	v_div_fixup_f32 v22, v26, v34, v22
	s_wait_alu 0xfffe
	v_div_fmas_f32 v24, v24, v30, v38
	v_add_f32_e32 v1, v1, v20
	v_div_fixup_f32 v23, v25, v34, v23
	v_add_f32_e32 v2, v2, v22
	s_delay_alu instid0(VALU_DEP_4) | instskip(NEXT) | instid1(VALU_DEP_1)
	v_div_fixup_f32 v21, v24, v34, v21
	v_dual_add_f32 v3, v3, v23 :: v_dual_add_f32 v4, v4, v21
	s_cbranch_scc0 .LBB2_7
	s_branch .LBB2_2
.LBB2_8:
	v_mov_b32_e32 v1, 0
	s_delay_alu instid0(VALU_DEP_1)
	v_dual_mov_b32 v2, v1 :: v_dual_mov_b32 v3, v1
	v_mov_b32_e32 v4, v1
.LBB2_9:
	s_delay_alu instid0(VALU_DEP_4)
	v_add_co_u32 v5, vcc_lo, s24, v17
	s_wait_alu 0xfffd
	v_add_co_ci_u32_e64 v6, null, s25, v18, vcc_lo
	global_store_b128 v[5:6], v[1:4], off
	s_endpgm
	.section	.rodata,"a",@progbits
	.p2align	6, 0x0
	.amdhsa_kernel _Z4mdh3PKfS0_S0_S0_S0_S0_S0_S0_Pfffi
		.amdhsa_group_segment_fixed_size 0
		.amdhsa_private_segment_fixed_size 0
		.amdhsa_kernarg_size 344
		.amdhsa_user_sgpr_count 2
		.amdhsa_user_sgpr_dispatch_ptr 0
		.amdhsa_user_sgpr_queue_ptr 0
		.amdhsa_user_sgpr_kernarg_segment_ptr 1
		.amdhsa_user_sgpr_dispatch_id 0
		.amdhsa_user_sgpr_private_segment_size 0
		.amdhsa_wavefront_size32 1
		.amdhsa_uses_dynamic_stack 0
		.amdhsa_enable_private_segment 0
		.amdhsa_system_sgpr_workgroup_id_x 1
		.amdhsa_system_sgpr_workgroup_id_y 0
		.amdhsa_system_sgpr_workgroup_id_z 0
		.amdhsa_system_sgpr_workgroup_info 0
		.amdhsa_system_vgpr_workitem_id 0
		.amdhsa_next_free_vgpr 50
		.amdhsa_next_free_sgpr 35
		.amdhsa_reserve_vcc 1
		.amdhsa_float_round_mode_32 0
		.amdhsa_float_round_mode_16_64 0
		.amdhsa_float_denorm_mode_32 3
		.amdhsa_float_denorm_mode_16_64 3
		.amdhsa_fp16_overflow 0
		.amdhsa_workgroup_processor_mode 1
		.amdhsa_memory_ordered 1
		.amdhsa_forward_progress 1
		.amdhsa_inst_pref_size 17
		.amdhsa_round_robin_scheduling 0
		.amdhsa_exception_fp_ieee_invalid_op 0
		.amdhsa_exception_fp_denorm_src 0
		.amdhsa_exception_fp_ieee_div_zero 0
		.amdhsa_exception_fp_ieee_overflow 0
		.amdhsa_exception_fp_ieee_underflow 0
		.amdhsa_exception_fp_ieee_inexact 0
		.amdhsa_exception_int_div_zero 0
	.end_amdhsa_kernel
	.text
.Lfunc_end2:
	.size	_Z4mdh3PKfS0_S0_S0_S0_S0_S0_S0_Pfffi, .Lfunc_end2-_Z4mdh3PKfS0_S0_S0_S0_S0_S0_S0_Pfffi
                                        ; -- End function
	.set _Z4mdh3PKfS0_S0_S0_S0_S0_S0_S0_Pfffi.num_vgpr, 50
	.set _Z4mdh3PKfS0_S0_S0_S0_S0_S0_S0_Pfffi.num_agpr, 0
	.set _Z4mdh3PKfS0_S0_S0_S0_S0_S0_S0_Pfffi.numbered_sgpr, 35
	.set _Z4mdh3PKfS0_S0_S0_S0_S0_S0_S0_Pfffi.num_named_barrier, 0
	.set _Z4mdh3PKfS0_S0_S0_S0_S0_S0_S0_Pfffi.private_seg_size, 0
	.set _Z4mdh3PKfS0_S0_S0_S0_S0_S0_S0_Pfffi.uses_vcc, 1
	.set _Z4mdh3PKfS0_S0_S0_S0_S0_S0_S0_Pfffi.uses_flat_scratch, 0
	.set _Z4mdh3PKfS0_S0_S0_S0_S0_S0_S0_Pfffi.has_dyn_sized_stack, 0
	.set _Z4mdh3PKfS0_S0_S0_S0_S0_S0_S0_Pfffi.has_recursion, 0
	.set _Z4mdh3PKfS0_S0_S0_S0_S0_S0_S0_Pfffi.has_indirect_call, 0
	.section	.AMDGPU.csdata,"",@progbits
; Kernel info:
; codeLenInByte = 2120
; TotalNumSgprs: 37
; NumVgprs: 50
; ScratchSize: 0
; MemoryBound: 0
; FloatMode: 240
; IeeeMode: 1
; LDSByteSize: 0 bytes/workgroup (compile time only)
; SGPRBlocks: 0
; VGPRBlocks: 6
; NumSGPRsForWavesPerEU: 37
; NumVGPRsForWavesPerEU: 50
; Occupancy: 16
; WaveLimiterHint : 0
; COMPUTE_PGM_RSRC2:SCRATCH_EN: 0
; COMPUTE_PGM_RSRC2:USER_SGPR: 2
; COMPUTE_PGM_RSRC2:TRAP_HANDLER: 0
; COMPUTE_PGM_RSRC2:TGID_X_EN: 1
; COMPUTE_PGM_RSRC2:TGID_Y_EN: 0
; COMPUTE_PGM_RSRC2:TGID_Z_EN: 0
; COMPUTE_PGM_RSRC2:TIDIG_COMP_CNT: 0
	.text
	.p2alignl 7, 3214868480
	.fill 96, 4, 3214868480
	.section	.AMDGPU.gpr_maximums,"",@progbits
	.set amdgpu.max_num_vgpr, 0
	.set amdgpu.max_num_agpr, 0
	.set amdgpu.max_num_sgpr, 0
	.text
	.type	__hip_cuid_a1c9447281d9e7b7,@object ; @__hip_cuid_a1c9447281d9e7b7
	.section	.bss,"aw",@nobits
	.globl	__hip_cuid_a1c9447281d9e7b7
__hip_cuid_a1c9447281d9e7b7:
	.byte	0                               ; 0x0
	.size	__hip_cuid_a1c9447281d9e7b7, 1

	.ident	"AMD clang version 22.0.0git (https://github.com/RadeonOpenCompute/llvm-project roc-7.2.4 26084 f58b06dce1f9c15707c5f808fd002e18c2accf7e)"
	.section	".note.GNU-stack","",@progbits
	.addrsig
	.addrsig_sym __hip_cuid_a1c9447281d9e7b7
	.amdgpu_metadata
---
amdhsa.kernels:
  - .args:
      - .actual_access:  read_only
        .address_space:  global
        .offset:         0
        .size:           8
        .value_kind:     global_buffer
      - .actual_access:  read_only
        .address_space:  global
        .offset:         8
        .size:           8
        .value_kind:     global_buffer
      - .actual_access:  read_only
        .address_space:  global
        .offset:         16
        .size:           8
        .value_kind:     global_buffer
      - .actual_access:  read_only
        .address_space:  global
        .offset:         24
        .size:           8
        .value_kind:     global_buffer
      - .actual_access:  read_only
        .address_space:  global
        .offset:         32
        .size:           8
        .value_kind:     global_buffer
      - .actual_access:  read_only
        .address_space:  global
        .offset:         40
        .size:           8
        .value_kind:     global_buffer
      - .actual_access:  read_only
        .address_space:  global
        .offset:         48
        .size:           8
        .value_kind:     global_buffer
      - .actual_access:  read_only
        .address_space:  global
        .offset:         56
        .size:           8
        .value_kind:     global_buffer
      - .actual_access:  write_only
        .address_space:  global
        .offset:         64
        .size:           8
        .value_kind:     global_buffer
      - .offset:         72
        .size:           4
        .value_kind:     by_value
      - .offset:         76
        .size:           4
        .value_kind:     by_value
      - .offset:         80
        .size:           4
        .value_kind:     by_value
      - .offset:         88
        .size:           4
        .value_kind:     hidden_block_count_x
      - .offset:         92
        .size:           4
        .value_kind:     hidden_block_count_y
      - .offset:         96
        .size:           4
        .value_kind:     hidden_block_count_z
      - .offset:         100
        .size:           2
        .value_kind:     hidden_group_size_x
      - .offset:         102
        .size:           2
        .value_kind:     hidden_group_size_y
      - .offset:         104
        .size:           2
        .value_kind:     hidden_group_size_z
      - .offset:         106
        .size:           2
        .value_kind:     hidden_remainder_x
      - .offset:         108
        .size:           2
        .value_kind:     hidden_remainder_y
      - .offset:         110
        .size:           2
        .value_kind:     hidden_remainder_z
      - .offset:         128
        .size:           8
        .value_kind:     hidden_global_offset_x
      - .offset:         136
        .size:           8
        .value_kind:     hidden_global_offset_y
      - .offset:         144
        .size:           8
        .value_kind:     hidden_global_offset_z
      - .offset:         152
        .size:           2
        .value_kind:     hidden_grid_dims
      - .offset:         208
        .size:           4
        .value_kind:     hidden_dynamic_lds_size
    .group_segment_fixed_size: 0
    .kernarg_segment_align: 8
    .kernarg_segment_size: 344
    .language:       OpenCL C
    .language_version:
      - 2
      - 0
    .max_flat_workgroup_size: 1024
    .name:           _Z3mdhPKfS0_S0_S0_S0_S0_S0_S0_Pfffi
    .private_segment_fixed_size: 0
    .sgpr_count:     36
    .sgpr_spill_count: 0
    .symbol:         _Z3mdhPKfS0_S0_S0_S0_S0_S0_S0_Pfffi.kd
    .uniform_work_group_size: 1
    .uses_dynamic_stack: false
    .vgpr_count:     58
    .vgpr_spill_count: 0
    .wavefront_size: 32
    .workgroup_processor_mode: 1
  - .args:
      - .actual_access:  read_only
        .address_space:  global
        .offset:         0
        .size:           8
        .value_kind:     global_buffer
      - .actual_access:  read_only
        .address_space:  global
        .offset:         8
        .size:           8
        .value_kind:     global_buffer
      - .actual_access:  read_only
        .address_space:  global
        .offset:         16
        .size:           8
        .value_kind:     global_buffer
      - .actual_access:  read_only
        .address_space:  global
        .offset:         24
        .size:           8
        .value_kind:     global_buffer
      - .actual_access:  read_only
        .address_space:  global
        .offset:         32
        .size:           8
        .value_kind:     global_buffer
      - .actual_access:  read_only
        .address_space:  global
        .offset:         40
        .size:           8
        .value_kind:     global_buffer
      - .actual_access:  read_only
        .address_space:  global
        .offset:         48
        .size:           8
        .value_kind:     global_buffer
      - .actual_access:  read_only
        .address_space:  global
        .offset:         56
        .size:           8
        .value_kind:     global_buffer
      - .actual_access:  write_only
        .address_space:  global
        .offset:         64
        .size:           8
        .value_kind:     global_buffer
      - .offset:         72
        .size:           4
        .value_kind:     by_value
      - .offset:         76
        .size:           4
        .value_kind:     by_value
      - .offset:         80
        .size:           4
        .value_kind:     by_value
      - .offset:         88
        .size:           4
        .value_kind:     hidden_block_count_x
      - .offset:         92
        .size:           4
        .value_kind:     hidden_block_count_y
      - .offset:         96
        .size:           4
        .value_kind:     hidden_block_count_z
      - .offset:         100
        .size:           2
        .value_kind:     hidden_group_size_x
      - .offset:         102
        .size:           2
        .value_kind:     hidden_group_size_y
      - .offset:         104
        .size:           2
        .value_kind:     hidden_group_size_z
      - .offset:         106
        .size:           2
        .value_kind:     hidden_remainder_x
      - .offset:         108
        .size:           2
        .value_kind:     hidden_remainder_y
      - .offset:         110
        .size:           2
        .value_kind:     hidden_remainder_z
      - .offset:         128
        .size:           8
        .value_kind:     hidden_global_offset_x
      - .offset:         136
        .size:           8
        .value_kind:     hidden_global_offset_y
      - .offset:         144
        .size:           8
        .value_kind:     hidden_global_offset_z
      - .offset:         152
        .size:           2
        .value_kind:     hidden_grid_dims
      - .offset:         208
        .size:           4
        .value_kind:     hidden_dynamic_lds_size
    .group_segment_fixed_size: 0
    .kernarg_segment_align: 8
    .kernarg_segment_size: 344
    .language:       OpenCL C
    .language_version:
      - 2
      - 0
    .max_flat_workgroup_size: 1024
    .name:           _Z4mdh2PKfS0_S0_S0_S0_S0_S0_S0_Pfffi
    .private_segment_fixed_size: 0
    .sgpr_count:     40
    .sgpr_spill_count: 0
    .symbol:         _Z4mdh2PKfS0_S0_S0_S0_S0_S0_S0_Pfffi.kd
    .uniform_work_group_size: 1
    .uses_dynamic_stack: false
    .vgpr_count:     58
    .vgpr_spill_count: 0
    .wavefront_size: 32
    .workgroup_processor_mode: 1
  - .args:
      - .actual_access:  read_only
        .address_space:  global
        .offset:         0
        .size:           8
        .value_kind:     global_buffer
      - .actual_access:  read_only
        .address_space:  global
        .offset:         8
        .size:           8
        .value_kind:     global_buffer
      - .actual_access:  read_only
        .address_space:  global
        .offset:         16
        .size:           8
        .value_kind:     global_buffer
      - .actual_access:  read_only
        .address_space:  global
        .offset:         24
        .size:           8
        .value_kind:     global_buffer
      - .actual_access:  read_only
        .address_space:  global
        .offset:         32
        .size:           8
        .value_kind:     global_buffer
      - .actual_access:  read_only
        .address_space:  global
        .offset:         40
        .size:           8
        .value_kind:     global_buffer
      - .actual_access:  read_only
        .address_space:  global
        .offset:         48
        .size:           8
        .value_kind:     global_buffer
      - .actual_access:  read_only
        .address_space:  global
        .offset:         56
        .size:           8
        .value_kind:     global_buffer
      - .actual_access:  write_only
        .address_space:  global
        .offset:         64
        .size:           8
        .value_kind:     global_buffer
      - .offset:         72
        .size:           4
        .value_kind:     by_value
      - .offset:         76
        .size:           4
        .value_kind:     by_value
      - .offset:         80
        .size:           4
        .value_kind:     by_value
      - .offset:         88
        .size:           4
        .value_kind:     hidden_block_count_x
      - .offset:         92
        .size:           4
        .value_kind:     hidden_block_count_y
      - .offset:         96
        .size:           4
        .value_kind:     hidden_block_count_z
      - .offset:         100
        .size:           2
        .value_kind:     hidden_group_size_x
      - .offset:         102
        .size:           2
        .value_kind:     hidden_group_size_y
      - .offset:         104
        .size:           2
        .value_kind:     hidden_group_size_z
      - .offset:         106
        .size:           2
        .value_kind:     hidden_remainder_x
      - .offset:         108
        .size:           2
        .value_kind:     hidden_remainder_y
      - .offset:         110
        .size:           2
        .value_kind:     hidden_remainder_z
      - .offset:         128
        .size:           8
        .value_kind:     hidden_global_offset_x
      - .offset:         136
        .size:           8
        .value_kind:     hidden_global_offset_y
      - .offset:         144
        .size:           8
        .value_kind:     hidden_global_offset_z
      - .offset:         152
        .size:           2
        .value_kind:     hidden_grid_dims
      - .offset:         208
        .size:           4
        .value_kind:     hidden_dynamic_lds_size
    .group_segment_fixed_size: 0
    .kernarg_segment_align: 8
    .kernarg_segment_size: 344
    .language:       OpenCL C
    .language_version:
      - 2
      - 0
    .max_flat_workgroup_size: 1024
    .name:           _Z4mdh3PKfS0_S0_S0_S0_S0_S0_S0_Pfffi
    .private_segment_fixed_size: 0
    .sgpr_count:     37
    .sgpr_spill_count: 0
    .symbol:         _Z4mdh3PKfS0_S0_S0_S0_S0_S0_S0_Pfffi.kd
    .uniform_work_group_size: 1
    .uses_dynamic_stack: false
    .vgpr_count:     50
    .vgpr_spill_count: 0
    .wavefront_size: 32
    .workgroup_processor_mode: 1
amdhsa.target:   amdgcn-amd-amdhsa--gfx1201
amdhsa.version:
  - 1
  - 2
...

	.end_amdgpu_metadata
